;; amdgpu-corpus repo=ROCm/rocFFT kind=compiled arch=gfx1201 opt=O3
	.text
	.amdgcn_target "amdgcn-amd-amdhsa--gfx1201"
	.amdhsa_code_object_version 6
	.protected	fft_rtc_fwd_len289_factors_17_17_wgs_119_tpt_17_half_op_CI_CI_sbrc_erc_z_xy_unaligned_dirReg ; -- Begin function fft_rtc_fwd_len289_factors_17_17_wgs_119_tpt_17_half_op_CI_CI_sbrc_erc_z_xy_unaligned_dirReg
	.globl	fft_rtc_fwd_len289_factors_17_17_wgs_119_tpt_17_half_op_CI_CI_sbrc_erc_z_xy_unaligned_dirReg
	.p2align	8
	.type	fft_rtc_fwd_len289_factors_17_17_wgs_119_tpt_17_half_op_CI_CI_sbrc_erc_z_xy_unaligned_dirReg,@function
fft_rtc_fwd_len289_factors_17_17_wgs_119_tpt_17_half_op_CI_CI_sbrc_erc_z_xy_unaligned_dirReg: ; @fft_rtc_fwd_len289_factors_17_17_wgs_119_tpt_17_half_op_CI_CI_sbrc_erc_z_xy_unaligned_dirReg
; %bb.0:
	s_clause 0x1
	s_load_b256 s[4:11], s[0:1], 0x0
	s_load_b64 s[20:21], s[0:1], 0x20
	v_and_b32_e32 v3, 0xffff, v0
	s_wait_kmcnt 0x0
	s_load_b128 s[12:15], s[8:9], 0x8
	s_load_b32 s28, s[10:11], 0x10
	s_wait_kmcnt 0x0
	s_add_co_i32 s2, s12, -1
	s_delay_alu instid0(SALU_CYCLE_1) | instskip(NEXT) | instid1(SALU_CYCLE_1)
	s_mul_hi_u32 s3, s2, 0x24924925
	s_sub_co_i32 s2, s2, s3
	s_delay_alu instid0(SALU_CYCLE_1) | instskip(NEXT) | instid1(SALU_CYCLE_1)
	s_lshr_b32 s2, s2, 1
	s_add_co_i32 s2, s2, s3
	s_delay_alu instid0(SALU_CYCLE_1) | instskip(NEXT) | instid1(SALU_CYCLE_1)
	s_lshr_b32 s2, s2, 2
	s_add_co_i32 s3, s2, 1
	s_delay_alu instid0(SALU_CYCLE_1) | instskip(SKIP_3) | instid1(SALU_CYCLE_2)
	s_mul_i32 s8, s3, s14
	s_cvt_f32_u32 s13, s3
	s_cvt_f32_u32 s9, s8
	s_sub_co_i32 s14, 0, s8
	v_rcp_iflag_f32_e32 v1, s9
	s_delay_alu instid0(TRANS32_DEP_1) | instskip(SKIP_1) | instid1(VALU_DEP_1)
	v_readfirstlane_b32 s9, v1
	v_rcp_iflag_f32_e32 v1, s13
	s_mul_f32 s9, s9, 0x4f7ffffe
	s_wait_alu 0xfffe
	s_delay_alu instid0(SALU_CYCLE_2) | instskip(SKIP_1) | instid1(SALU_CYCLE_2)
	s_cvt_u32_f32 s9, s9
	s_wait_alu 0xfffe
	s_mul_i32 s14, s14, s9
	s_delay_alu instid0(SALU_CYCLE_1) | instskip(NEXT) | instid1(TRANS32_DEP_1)
	s_mul_hi_u32 s13, s9, s14
	v_readfirstlane_b32 s14, v1
	s_wait_alu 0xfffe
	s_add_co_i32 s9, s9, s13
	s_wait_alu 0xfffe
	s_mul_hi_u32 s9, ttmp9, s9
	s_mul_f32 s14, s14, 0x4f7ffffe
	s_wait_alu 0xfffe
	s_mul_i32 s13, s9, s8
	s_add_co_i32 s15, s9, 1
	s_wait_alu 0xfffe
	s_sub_co_i32 s13, ttmp9, s13
	s_wait_alu 0xfffe
	s_sub_co_i32 s16, s13, s8
	s_cmp_ge_u32 s13, s8
	s_cselect_b32 s9, s15, s9
	s_cselect_b32 s13, s16, s13
	s_load_b128 s[16:19], s[10:11], 0x0
	s_add_co_i32 s15, s9, 1
	s_cmp_ge_u32 s13, s8
	s_cvt_u32_f32 s13, s14
	s_cselect_b32 s14, s15, s9
	s_not_b32 s2, s2
	s_mul_i32 s8, s14, s8
	s_wait_alu 0xfffe
	s_mul_i32 s2, s2, s13
	s_sub_co_i32 s8, ttmp9, s8
	s_mul_hi_u32 s2, s13, s2
	s_delay_alu instid0(SALU_CYCLE_1)
	s_add_co_i32 s13, s13, s2
	s_wait_alu 0xfffe
	s_mul_hi_u32 s2, s8, s13
	s_mul_hi_u32 s13, ttmp9, s13
	s_mul_i32 s9, s2, s3
	s_wait_alu 0xfffe
	s_sub_co_i32 s8, s8, s9
	s_add_co_i32 s9, s2, 1
	s_wait_alu 0xfffe
	s_sub_co_i32 s15, s8, s3
	s_cmp_ge_u32 s8, s3
	s_cselect_b32 s2, s9, s2
	s_cselect_b32 s8, s15, s8
	s_add_co_i32 s9, s2, 1
	s_wait_alu 0xfffe
	s_cmp_ge_u32 s8, s3
	s_mul_i32 s8, s13, s3
	s_cselect_b32 s13, s9, s2
	s_wait_alu 0xfffe
	s_sub_co_i32 s2, ttmp9, s8
	s_mov_b32 s15, 0
	s_sub_co_i32 s8, s2, s3
	s_cmp_ge_u32 s2, s3
	s_mov_b32 s29, s15
	s_wait_alu 0xfffe
	s_cselect_b32 s2, s8, s2
	s_delay_alu instid0(SALU_CYCLE_1)
	s_sub_co_i32 s8, s2, s3
	s_cmp_ge_u32 s2, s3
	s_wait_kmcnt 0x0
	s_wait_alu 0xfffe
	s_cselect_b32 s19, s8, s2
	s_lshl_b64 s[24:25], s[6:7], 3
	s_mul_i32 s6, s19, 7
	s_add_nc_u64 s[2:3], s[10:11], s[24:25]
	s_load_b64 s[26:27], s[2:3], 0x0
	s_load_b64 s[22:23], s[0:1], 0x58
	s_clause 0x1
	s_load_b128 s[8:11], s[20:21], 0x0
	s_load_b64 s[2:3], s[20:21], 0x10
	s_wait_kmcnt 0x0
	s_mul_i32 s3, s13, s28
	s_mul_i32 s11, s6, s18
	s_add_co_i32 s19, s6, 7
	s_add_co_i32 s28, s11, s3
	s_cmp_le_u32 s19, s12
	s_add_nc_u64 s[20:21], s[20:21], s[24:25]
	s_cselect_b32 s3, -1, 0
	s_mov_b32 s7, -1
	s_and_b32 vcc_lo, exec_lo, s3
	s_mul_u64 s[24:25], s[26:27], s[14:15]
	s_delay_alu instid0(SALU_CYCLE_1)
	s_add_nc_u64 s[24:25], s[24:25], s[28:29]
	s_cbranch_vccz .LBB0_2
; %bb.1:
	v_add_nc_u16 v6, v0, 0xee
	v_mad_co_u64_u32 v[11:12], null, s16, v3, 0
	v_add_nc_u16 v4, v0, 0x77
	v_add_nc_u16 v10, v0, 0x165
	s_delay_alu instid0(VALU_DEP_4) | instskip(SKIP_1) | instid1(VALU_DEP_4)
	v_dual_mov_b32 v2, 0 :: v_dual_and_b32 v1, 0xffff, v6
	v_add_nc_u16 v20, v0, 0x1dc
	v_and_b32_e32 v4, 0xffff, v4
	v_add_nc_u16 v26, v0, 0x253
	s_delay_alu instid0(VALU_DEP_4)
	v_mul_u32_u24_e32 v1, 0xe3, v1
	s_lshl_b64 s[26:27], s[24:25], 2
	v_add_nc_u16 v27, v0, 0x2ca
	s_add_nc_u64 s[26:27], s[22:23], s[26:27]
	v_and_b32_e32 v9, 0xffff, v26
	v_lshrrev_b32_e32 v5, 16, v1
	v_mov_b32_e32 v1, v12
	v_mad_co_u64_u32 v[13:14], null, s16, v4, 0
	v_and_b32_e32 v8, 0xffff, v20
	s_delay_alu instid0(VALU_DEP_4) | instskip(NEXT) | instid1(VALU_DEP_4)
	v_mul_lo_u16 v12, 0x121, v5
	v_mad_co_u64_u32 v[15:16], null, s17, v3, v[1:2]
	v_and_b32_e32 v7, 0xffff, v10
	v_mul_u32_u24_e32 v23, 0xe3, v9
	v_mov_b32_e32 v9, v14
	v_mul_u32_u24_e32 v17, 0xe3, v8
	v_sub_nc_u16 v8, v6, v12
	v_add_nc_u16 v28, v0, 0x341
	v_mov_b32_e32 v12, v15
	v_mul_u32_u24_e32 v7, 0xe3, v7
	v_add_nc_u16 v32, v0, 0x3b8
	v_add_nc_u16 v42, v0, 0x42f
	v_and_b32_e32 v29, 0xffff, v28
	v_add_nc_u16 v43, v0, 0x4a6
	v_lshrrev_b32_e32 v6, 16, v7
	v_lshrrev_b32_e32 v7, 16, v17
	v_and_b32_e32 v33, 0xffff, v42
	v_add_nc_u16 v50, v0, 0x60b
	v_add_nc_u16 v52, v0, 0x6f9
	v_mul_lo_u16 v1, 0x121, v6
	v_mul_lo_u16 v14, 0x121, v7
	v_add_nc_u16 v55, v0, 0x770
	s_mov_b32 s7, s15
	s_delay_alu instid0(VALU_DEP_3)
	v_sub_nc_u16 v10, v10, v1
	v_mul_lo_u32 v1, s18, v5
	v_sub_nc_u16 v15, v20, v14
	v_and_b32_e32 v58, 0xffff, v55
	v_mul_u32_u24_e32 v5, 0x488, v5
	v_mad_co_u64_u32 v[18:19], null, s17, v4, v[9:10]
	v_and_b32_e32 v9, 0xffff, v10
	v_lshl_add_u32 v4, v4, 2, 0
	v_lshlrev_b64_e32 v[24:25], 2, v[1:2]
	s_delay_alu instid0(VALU_DEP_4) | instskip(NEXT) | instid1(VALU_DEP_4)
	v_mov_b32_e32 v14, v18
	v_mad_co_u64_u32 v[19:20], null, s16, v9, 0
	s_delay_alu instid0(VALU_DEP_1) | instskip(NEXT) | instid1(VALU_DEP_1)
	v_dual_mov_b32 v1, v20 :: v_dual_and_b32 v8, 0xffff, v8
	v_mad_co_u64_u32 v[16:17], null, s16, v8, 0
	s_delay_alu instid0(VALU_DEP_1) | instskip(NEXT) | instid1(VALU_DEP_1)
	v_mov_b32_e32 v10, v17
	v_mad_co_u64_u32 v[21:22], null, s17, v8, v[10:11]
	v_lshrrev_b32_e32 v10, 16, v23
	v_lshlrev_b64_e32 v[22:23], 2, v[11:12]
	v_lshlrev_b64_e32 v[12:13], 2, v[13:14]
	v_and_b32_e32 v11, 0xffff, v15
	v_dual_mov_b32 v17, v21 :: v_dual_lshlrev_b32 v8, 2, v8
	v_mad_co_u64_u32 v[20:21], null, s17, v9, v[1:2]
	v_add_co_u32 v14, vcc_lo, s26, v22
	s_delay_alu instid0(VALU_DEP_3) | instskip(SKIP_4) | instid1(VALU_DEP_4)
	v_lshlrev_b64_e32 v[16:17], 2, v[16:17]
	v_add_co_ci_u32_e32 v15, vcc_lo, s27, v23, vcc_lo
	v_add_co_u32 v12, vcc_lo, s26, v12
	s_wait_alu 0xfffd
	v_add_co_ci_u32_e32 v13, vcc_lo, s27, v13, vcc_lo
	v_add_co_u32 v1, vcc_lo, s26, v16
	v_lshlrev_b64_e32 v[18:19], 2, v[19:20]
	v_mad_co_u64_u32 v[20:21], null, s16, v11, 0
	s_wait_alu 0xfffd
	v_add_co_ci_u32_e32 v17, vcc_lo, s27, v17, vcc_lo
	v_mul_lo_u16 v22, 0x121, v10
	v_add_co_u32 v16, vcc_lo, v1, v24
	v_mul_lo_u32 v1, s18, v6
	s_wait_alu 0xfffd
	v_add_co_ci_u32_e32 v17, vcc_lo, v17, v25, vcc_lo
	v_add_co_u32 v25, vcc_lo, s26, v18
	v_mov_b32_e32 v18, v21
	v_sub_nc_u16 v23, v26, v22
	s_wait_alu 0xfffd
	v_add_co_ci_u32_e32 v26, vcc_lo, s27, v19, vcc_lo
	v_lshlrev_b64_e32 v[21:22], 2, v[1:2]
	v_and_b32_e32 v1, 0xffff, v27
	v_mad_co_u64_u32 v[18:19], null, s17, v11, v[18:19]
	v_and_b32_e32 v35, 0xffff, v23
	s_delay_alu instid0(VALU_DEP_3) | instskip(SKIP_1) | instid1(VALU_DEP_3)
	v_mul_u32_u24_e32 v1, 0xe3, v1
	v_add_co_u32 v25, vcc_lo, v25, v21
	v_mad_co_u64_u32 v[23:24], null, s16, v35, 0
	v_mov_b32_e32 v21, v18
	s_delay_alu instid0(VALU_DEP_4)
	v_lshrrev_b32_e32 v36, 16, v1
	s_wait_alu 0xfffd
	v_add_co_ci_u32_e32 v26, vcc_lo, v26, v22, vcc_lo
	v_mul_lo_u32 v1, s18, v7
	v_lshlrev_b64_e32 v[19:20], 2, v[20:21]
	v_mov_b32_e32 v18, v24
	v_mul_lo_u16 v24, 0x121, v36
	s_delay_alu instid0(VALU_DEP_2) | instskip(NEXT) | instid1(VALU_DEP_2)
	v_mad_co_u64_u32 v[21:22], null, s17, v35, v[18:19]
	v_sub_nc_u16 v22, v27, v24
	v_mul_u32_u24_e32 v24, 0xe3, v29
	v_add_co_u32 v27, vcc_lo, s26, v19
	v_lshlrev_b64_e32 v[18:19], 2, v[1:2]
	s_wait_alu 0xfffd
	v_add_co_ci_u32_e32 v29, vcc_lo, s27, v20, vcc_lo
	v_lshrrev_b32_e32 v38, 16, v24
	v_and_b32_e32 v37, 0xffff, v22
	v_mul_lo_u32 v1, s18, v10
	v_mov_b32_e32 v24, v21
	v_add_co_u32 v18, vcc_lo, v27, v18
	v_mul_lo_u16 v22, 0x121, v38
	s_wait_alu 0xfffd
	v_add_co_ci_u32_e32 v19, vcc_lo, v29, v19, vcc_lo
	v_mad_co_u64_u32 v[20:21], null, s16, v37, 0
	s_delay_alu instid0(VALU_DEP_3) | instskip(SKIP_3) | instid1(VALU_DEP_4)
	v_sub_nc_u16 v29, v28, v22
	v_lshlrev_b64_e32 v[22:23], 2, v[23:24]
	v_lshlrev_b64_e32 v[27:28], 2, v[1:2]
	v_and_b32_e32 v1, 0xffff, v32
	v_and_b32_e32 v39, 0xffff, v29
	s_delay_alu instid0(VALU_DEP_4) | instskip(NEXT) | instid1(VALU_DEP_3)
	v_mad_co_u64_u32 v[29:30], null, s17, v37, v[21:22]
	v_mul_u32_u24_e32 v1, 0x717, v1
	s_delay_alu instid0(VALU_DEP_3) | instskip(SKIP_1) | instid1(VALU_DEP_3)
	v_mad_co_u64_u32 v[30:31], null, s16, v39, 0
	v_add_co_u32 v22, vcc_lo, s26, v22
	v_lshrrev_b32_e32 v40, 19, v1
	s_wait_alu 0xfffd
	v_add_co_ci_u32_e32 v23, vcc_lo, s27, v23, vcc_lo
	s_delay_alu instid0(VALU_DEP_4) | instskip(NEXT) | instid1(VALU_DEP_3)
	v_dual_mov_b32 v21, v29 :: v_dual_mov_b32 v24, v31
	v_mul_lo_u16 v29, 0x121, v40
	v_add_co_u32 v22, vcc_lo, v22, v27
	s_wait_alu 0xfffd
	v_add_co_ci_u32_e32 v23, vcc_lo, v23, v28, vcc_lo
	v_mad_co_u64_u32 v[27:28], null, s17, v39, v[24:25]
	v_sub_nc_u16 v24, v32, v29
	v_lshlrev_b64_e32 v[20:21], 2, v[20:21]
	v_mul_lo_u32 v1, s18, v36
	s_delay_alu instid0(VALU_DEP_3) | instskip(SKIP_1) | instid1(VALU_DEP_4)
	v_and_b32_e32 v41, 0xffff, v24
	v_mov_b32_e32 v31, v27
	v_add_co_u32 v29, vcc_lo, s26, v20
	s_wait_alu 0xfffd
	v_add_co_ci_u32_e32 v32, vcc_lo, s27, v21, vcc_lo
	v_mad_co_u64_u32 v[27:28], null, s16, v41, 0
	v_lshlrev_b64_e32 v[20:21], 2, v[1:2]
	v_mul_lo_u32 v1, s18, v38
	s_delay_alu instid0(VALU_DEP_3) | instskip(SKIP_1) | instid1(VALU_DEP_4)
	v_mov_b32_e32 v24, v28
	v_mul_u32_u24_e32 v28, 0x717, v33
	v_add_co_u32 v20, vcc_lo, v29, v20
	v_lshlrev_b64_e32 v[29:30], 2, v[30:31]
	s_delay_alu instid0(VALU_DEP_4) | instskip(NEXT) | instid1(VALU_DEP_4)
	v_mad_co_u64_u32 v[33:34], null, s17, v41, v[24:25]
	v_lshrrev_b32_e32 v34, 19, v28
	s_wait_alu 0xfffd
	v_add_co_ci_u32_e32 v21, vcc_lo, v32, v21, vcc_lo
	v_lshlrev_b64_e32 v[31:32], 2, v[1:2]
	v_add_co_u32 v24, vcc_lo, s26, v29
	v_mul_lo_u16 v44, 0x121, v34
	v_and_b32_e32 v1, 0xffff, v43
	s_wait_alu 0xfffd
	v_add_co_ci_u32_e32 v28, vcc_lo, s27, v30, vcc_lo
	v_add_co_u32 v29, vcc_lo, v24, v31
	v_sub_nc_u16 v24, v42, v44
	v_mul_u32_u24_e32 v1, 0x717, v1
	s_wait_alu 0xfffd
	v_add_co_ci_u32_e32 v30, vcc_lo, v28, v32, vcc_lo
	v_mov_b32_e32 v28, v33
	s_clause 0x7
	global_load_b32 v32, v[14:15], off
	global_load_b32 v33, v[12:13], off
	;; [unrolled: 1-line block ×8, first 2 shown]
	v_and_b32_e32 v30, 0xffff, v24
	v_lshrrev_b32_e32 v31, 19, v1
	v_add_nc_u16 v21, v0, 0x51d
	v_lshlrev_b64_e32 v[12:13], 2, v[27:28]
	v_mul_lo_u32 v1, s18, v40
	v_mad_co_u64_u32 v[14:15], null, s16, v30, 0
	v_mul_lo_u16 v16, 0x121, v31
	v_and_b32_e32 v18, 0xffff, v21
	v_add_co_u32 v19, vcc_lo, s26, v12
	s_wait_alu 0xfffd
	v_add_co_ci_u32_e32 v20, vcc_lo, s27, v13, vcc_lo
	v_sub_nc_u16 v17, v43, v16
	v_mov_b32_e32 v12, v15
	v_lshlrev_b64_e32 v[15:16], 2, v[1:2]
	v_mul_u32_u24_e32 v1, 0x717, v18
	v_add_nc_u16 v23, v0, 0x594
	v_and_b32_e32 v27, 0xffff, v17
	v_mad_co_u64_u32 v[12:13], null, s17, v30, v[12:13]
	s_delay_alu instid0(VALU_DEP_4) | instskip(SKIP_1) | instid1(VALU_DEP_4)
	v_lshrrev_b32_e32 v28, 19, v1
	v_add_co_u32 v19, vcc_lo, v19, v15
	v_mad_co_u64_u32 v[17:18], null, s16, v27, 0
	s_wait_alu 0xfffd
	v_add_co_ci_u32_e32 v20, vcc_lo, v20, v16, vcc_lo
	v_mul_lo_u16 v13, 0x121, v28
	v_dual_mov_b32 v15, v12 :: v_dual_and_b32 v16, 0xffff, v23
	v_mul_lo_u32 v1, s18, v34
	v_mov_b32_e32 v12, v18
	s_delay_alu instid0(VALU_DEP_4) | instskip(NEXT) | instid1(VALU_DEP_4)
	v_sub_nc_u16 v18, v21, v13
	v_mul_u32_u24_e32 v21, 0x717, v16
	v_lshlrev_b64_e32 v[13:14], 2, v[14:15]
	s_delay_alu instid0(VALU_DEP_3) | instskip(NEXT) | instid1(VALU_DEP_3)
	v_and_b32_e32 v43, 0xffff, v18
	v_lshrrev_b32_e32 v48, 19, v21
	s_delay_alu instid0(VALU_DEP_3) | instskip(SKIP_1) | instid1(VALU_DEP_3)
	v_mad_co_u64_u32 v[15:16], null, s17, v27, v[12:13]
	v_add_co_u32 v16, vcc_lo, s26, v13
	v_mul_lo_u16 v24, 0x121, v48
	v_lshlrev_b64_e32 v[12:13], 2, v[1:2]
	v_mad_co_u64_u32 v[21:22], null, s16, v43, 0
	v_mov_b32_e32 v18, v15
	s_wait_alu 0xfffd
	v_add_co_ci_u32_e32 v14, vcc_lo, s27, v14, vcc_lo
	v_sub_nc_u16 v23, v23, v24
	v_add_co_u32 v12, vcc_lo, v16, v12
	v_lshlrev_b64_e32 v[15:16], 2, v[17:18]
	s_wait_alu 0xfffd
	v_add_co_ci_u32_e32 v13, vcc_lo, v14, v13, vcc_lo
	v_dual_mov_b32 v14, v22 :: v_dual_and_b32 v49, 0xffff, v23
	v_mul_lo_u32 v1, s18, v31
	s_delay_alu instid0(VALU_DEP_4) | instskip(NEXT) | instid1(VALU_DEP_3)
	v_add_co_u32 v25, vcc_lo, s26, v15
	v_mad_co_u64_u32 v[17:18], null, s17, v43, v[14:15]
	s_delay_alu instid0(VALU_DEP_4)
	v_mad_co_u64_u32 v[23:24], null, s16, v49, 0
	v_and_b32_e32 v18, 0xffff, v50
	s_wait_alu 0xfffd
	v_add_co_ci_u32_e32 v26, vcc_lo, s27, v16, vcc_lo
	v_lshlrev_b64_e32 v[14:15], 2, v[1:2]
	v_mov_b32_e32 v22, v17
	v_mul_lo_u32 v1, s18, v28
	v_mov_b32_e32 v16, v24
	v_mul_u32_u24_e32 v24, 0x717, v18
	s_delay_alu instid0(VALU_DEP_4) | instskip(SKIP_1) | instid1(VALU_DEP_3)
	v_lshlrev_b64_e32 v[17:18], 2, v[21:22]
	v_add_co_u32 v14, vcc_lo, v25, v14
	v_lshrrev_b32_e32 v51, 19, v24
	s_wait_alu 0xfffd
	v_add_co_ci_u32_e32 v15, vcc_lo, v26, v15, vcc_lo
	v_lshlrev_b64_e32 v[25:26], 2, v[1:2]
	v_mad_co_u64_u32 v[21:22], null, s17, v49, v[16:17]
	v_mul_lo_u16 v1, 0x121, v51
	v_add_co_u32 v16, vcc_lo, s26, v17
	s_wait_alu 0xfffd
	v_add_co_ci_u32_e32 v17, vcc_lo, s27, v18, vcc_lo
	v_add_nc_u16 v18, v0, 0x682
	v_sub_nc_u16 v1, v50, v1
	v_add_co_u32 v16, vcc_lo, v16, v25
	s_delay_alu instid0(VALU_DEP_3) | instskip(NEXT) | instid1(VALU_DEP_3)
	v_dual_mov_b32 v24, v21 :: v_dual_and_b32 v25, 0xffff, v18
	v_and_b32_e32 v50, 0xffff, v1
	v_mul_lo_u32 v1, s18, v48
	s_wait_alu 0xfffd
	v_add_co_ci_u32_e32 v17, vcc_lo, v17, v26, vcc_lo
	v_mul_u32_u24_e32 v25, 0x717, v25
	v_lshlrev_b64_e32 v[21:22], 2, v[23:24]
	v_mad_co_u64_u32 v[23:24], null, s16, v50, 0
	s_delay_alu instid0(VALU_DEP_3) | instskip(SKIP_1) | instid1(VALU_DEP_4)
	v_lshrrev_b32_e32 v54, 19, v25
	v_and_b32_e32 v25, 0xffff, v52
	v_add_co_u32 v26, vcc_lo, s26, v21
	s_wait_alu 0xfffd
	v_add_co_ci_u32_e32 v53, vcc_lo, s27, v22, vcc_lo
	v_lshlrev_b64_e32 v[21:22], 2, v[1:2]
	v_mov_b32_e32 v1, v24
	v_mul_lo_u16 v56, 0x121, v54
	v_mul_u32_u24_e32 v57, 0x717, v25
	s_delay_alu instid0(VALU_DEP_3) | instskip(NEXT) | instid1(VALU_DEP_3)
	v_mad_co_u64_u32 v[24:25], null, s17, v50, v[1:2]
	v_sub_nc_u16 v1, v18, v56
	s_delay_alu instid0(VALU_DEP_3)
	v_lshrrev_b32_e32 v56, 19, v57
	v_mul_u32_u24_e32 v18, 0x717, v58
	v_add_co_u32 v21, vcc_lo, v26, v21
	s_wait_alu 0xfffd
	v_add_co_ci_u32_e32 v22, vcc_lo, v53, v22, vcc_lo
	v_and_b32_e32 v53, 0xffff, v1
	v_mul_lo_u16 v1, 0x121, v56
	v_lshrrev_b32_e32 v57, 19, v18
	s_delay_alu instid0(VALU_DEP_3) | instskip(NEXT) | instid1(VALU_DEP_3)
	v_mad_co_u64_u32 v[25:26], null, s16, v53, 0
	v_sub_nc_u16 v18, v52, v1
	s_delay_alu instid0(VALU_DEP_3)
	v_mul_lo_u16 v1, 0x121, v57
	s_clause 0x4
	global_load_b32 v52, v[19:20], off
	global_load_b32 v58, v[12:13], off
	;; [unrolled: 1-line block ×5, first 2 shown]
	v_lshlrev_b64_e32 v[12:13], 2, v[23:24]
	v_sub_nc_u16 v15, v55, v1
	v_dual_mov_b32 v14, v26 :: v_dual_and_b32 v55, 0xffff, v18
	v_mul_lo_u32 v1, s18, v51
	s_delay_alu instid0(VALU_DEP_4) | instskip(NEXT) | instid1(VALU_DEP_4)
	v_add_co_u32 v20, vcc_lo, s26, v12
	v_and_b32_e32 v62, 0xffff, v15
	s_delay_alu instid0(VALU_DEP_4) | instskip(SKIP_2) | instid1(VALU_DEP_2)
	v_mad_co_u64_u32 v[15:16], null, s16, v55, 0
	s_wait_alu 0xfffd
	v_add_co_ci_u32_e32 v21, vcc_lo, s27, v13, vcc_lo
	v_mad_co_u64_u32 v[17:18], null, s17, v53, v[14:15]
	v_mad_co_u64_u32 v[18:19], null, s16, v62, 0
	v_lshlrev_b64_e32 v[13:14], 2, v[1:2]
	v_mov_b32_e32 v12, v16
	v_mul_lo_u32 v1, s18, v54
	v_mov_b32_e32 v26, v17
	s_delay_alu instid0(VALU_DEP_3) | instskip(SKIP_2) | instid1(VALU_DEP_4)
	v_mad_co_u64_u32 v[16:17], null, s17, v55, v[12:13]
	v_mov_b32_e32 v12, v19
	v_add_co_u32 v13, vcc_lo, v20, v13
	v_lshlrev_b64_e32 v[19:20], 2, v[25:26]
	s_wait_alu 0xfffd
	v_add_co_ci_u32_e32 v14, vcc_lo, v21, v14, vcc_lo
	s_delay_alu instid0(VALU_DEP_3)
	v_mad_co_u64_u32 v[23:24], null, s17, v62, v[12:13]
	v_lshlrev_b64_e32 v[21:22], 2, v[1:2]
	v_mul_lo_u32 v1, s18, v56
	v_add_co_u32 v12, vcc_lo, s26, v19
	s_wait_alu 0xfffd
	v_add_co_ci_u32_e32 v17, vcc_lo, s27, v20, vcc_lo
	v_mov_b32_e32 v19, v23
	s_delay_alu instid0(VALU_DEP_3)
	v_add_co_u32 v20, vcc_lo, v12, v21
	v_lshlrev_b64_e32 v[15:16], 2, v[15:16]
	s_wait_alu 0xfffd
	v_add_co_ci_u32_e32 v21, vcc_lo, v17, v22, vcc_lo
	v_lshlrev_b64_e32 v[22:23], 2, v[1:2]
	v_mul_lo_u32 v1, s18, v57
	v_lshlrev_b64_e32 v[17:18], 2, v[18:19]
	v_add_co_u32 v12, vcc_lo, s26, v15
	s_wait_alu 0xfffd
	v_add_co_ci_u32_e32 v16, vcc_lo, s27, v16, vcc_lo
	s_delay_alu instid0(VALU_DEP_3)
	v_add_co_u32 v17, vcc_lo, s26, v17
	v_lshlrev_b64_e32 v[1:2], 2, v[1:2]
	s_wait_alu 0xfffd
	v_add_co_ci_u32_e32 v18, vcc_lo, s27, v18, vcc_lo
	v_add_co_u32 v15, vcc_lo, v12, v22
	s_wait_alu 0xfffd
	v_add_co_ci_u32_e32 v16, vcc_lo, v16, v23, vcc_lo
	v_add_co_u32 v1, vcc_lo, v17, v1
	s_wait_alu 0xfffd
	v_add_co_ci_u32_e32 v2, vcc_lo, v18, v2, vcc_lo
	s_clause 0x3
	global_load_b32 v12, v[13:14], off
	global_load_b32 v13, v[20:21], off
	;; [unrolled: 1-line block ×4, first 2 shown]
	v_lshl_add_u32 v2, v3, 2, 0
	s_wait_loadcnt 0x10
	ds_store_b32 v2, v32
	s_wait_loadcnt 0xf
	ds_store_b32 v4, v33
	v_add3_u32 v2, 0, v5, v8
	v_mul_u32_u24_e32 v4, 0x488, v6
	v_lshlrev_b32_e32 v5, 2, v9
	v_mul_u32_u24_e32 v6, 0x488, v7
	v_lshlrev_b32_e32 v7, 2, v11
	;; [unrolled: 2-line block ×4, first 2 shown]
	s_wait_loadcnt 0xe
	ds_store_b32 v2, v42
	v_add3_u32 v2, 0, v4, v5
	v_add3_u32 v4, 0, v6, v7
	;; [unrolled: 1-line block ×3, first 2 shown]
	v_mul_u32_u24_e32 v7, 0x488, v38
	v_lshlrev_b32_e32 v8, 2, v39
	v_add3_u32 v6, 0, v10, v11
	s_wait_loadcnt 0xd
	ds_store_b32 v2, v44
	s_wait_loadcnt 0xc
	ds_store_b32 v4, v45
	s_wait_loadcnt 0xb
	ds_store_b32 v5, v46
	s_wait_loadcnt 0xa
	ds_store_b32 v6, v47
	v_mul_u32_u24_e32 v4, 0x488, v40
	v_add3_u32 v2, 0, v7, v8
	v_lshlrev_b32_e32 v5, 2, v41
	v_mul_u32_u24_e32 v6, 0x488, v34
	v_lshlrev_b32_e32 v7, 2, v30
	v_mul_u32_u24_e32 v8, 0x488, v31
	;; [unrolled: 2-line block ×3, first 2 shown]
	v_lshlrev_b32_e32 v11, 2, v43
	s_wait_loadcnt 0x9
	ds_store_b32 v2, v29
	v_add3_u32 v2, 0, v4, v5
	v_add3_u32 v4, 0, v6, v7
	v_add3_u32 v5, 0, v8, v9
	v_mul_u32_u24_e32 v7, 0x488, v48
	v_lshlrev_b32_e32 v8, 2, v49
	v_add3_u32 v6, 0, v10, v11
	v_mul_u32_u24_e32 v10, 0x488, v57
	v_lshlrev_b32_e32 v11, 2, v62
	v_lshlrev_b32_e32 v9, 2, v55
	s_wait_loadcnt 0x8
	ds_store_b32 v2, v52
	s_wait_loadcnt 0x7
	ds_store_b32 v4, v58
	;; [unrolled: 2-line block ×4, first 2 shown]
	v_add3_u32 v2, 0, v7, v8
	v_mul_u32_u24_e32 v4, 0x488, v51
	v_lshlrev_b32_e32 v5, 2, v50
	v_mul_u32_u24_e32 v6, 0x488, v54
	v_lshlrev_b32_e32 v7, 2, v53
	v_mul_u32_u24_e32 v8, 0x488, v56
	s_wait_loadcnt 0x4
	ds_store_b32 v2, v61
	v_add3_u32 v4, 0, v4, v5
	v_add3_u32 v2, 0, v10, v11
	;; [unrolled: 1-line block ×4, first 2 shown]
	s_wait_loadcnt 0x3
	ds_store_b32 v4, v12
	s_wait_loadcnt 0x2
	ds_store_b32 v5, v13
	;; [unrolled: 2-line block ×4, first 2 shown]
.LBB0_2:
	s_load_b64 s[20:21], s[20:21], 0x0
	s_and_not1_b32 vcc_lo, exec_lo, s7
	s_wait_alu 0xfffe
	s_cbranch_vccnz .LBB0_6
; %bb.3:
	v_mov_b32_e32 v2, 0
	v_mov_b32_e32 v4, v0
	s_lshl_b64 s[24:25], s[24:25], 2
	s_mov_b32 s7, 0
	s_add_nc_u64 s[22:23], s[22:23], s[24:25]
.LBB0_4:                                ; =>This Inner Loop Header: Depth=1
	s_delay_alu instid0(VALU_DEP_1) | instskip(NEXT) | instid1(VALU_DEP_1)
	v_and_b32_e32 v1, 0xffff, v4
	v_mul_u32_u24_e32 v1, 0xe2c5, v1
	s_delay_alu instid0(VALU_DEP_1) | instskip(NEXT) | instid1(VALU_DEP_1)
	v_lshrrev_b32_e32 v9, 24, v1
	v_mul_lo_u16 v1, 0x121, v9
	s_delay_alu instid0(VALU_DEP_1) | instskip(SKIP_1) | instid1(VALU_DEP_2)
	v_sub_nc_u16 v1, v4, v1
	v_add_nc_u32_e32 v4, 0x77, v4
	v_and_b32_e32 v10, 0xffff, v1
	s_delay_alu instid0(VALU_DEP_1) | instskip(NEXT) | instid1(VALU_DEP_1)
	v_mad_co_u64_u32 v[5:6], null, s16, v10, 0
	v_mov_b32_e32 v1, v6
	s_delay_alu instid0(VALU_DEP_1) | instskip(SKIP_1) | instid1(VALU_DEP_2)
	v_mad_co_u64_u32 v[6:7], null, s17, v10, v[1:2]
	v_mul_lo_u32 v1, v9, s18
	v_lshlrev_b64_e32 v[5:6], 2, v[5:6]
	s_delay_alu instid0(VALU_DEP_2) | instskip(NEXT) | instid1(VALU_DEP_2)
	v_lshlrev_b64_e32 v[7:8], 2, v[1:2]
	v_add_co_u32 v1, vcc_lo, s22, v5
	s_wait_alu 0xfffd
	s_delay_alu instid0(VALU_DEP_3) | instskip(NEXT) | instid1(VALU_DEP_2)
	v_add_co_ci_u32_e32 v6, vcc_lo, s23, v6, vcc_lo
	v_add_co_u32 v5, vcc_lo, v1, v7
	s_wait_alu 0xfffd
	s_delay_alu instid0(VALU_DEP_2)
	v_add_co_ci_u32_e32 v6, vcc_lo, v6, v8, vcc_lo
	v_cmp_lt_u32_e32 vcc_lo, 0x7e6, v4
	global_load_b32 v1, v[5:6], off
	v_mul_u32_u24_e32 v5, 0x488, v9
	v_lshlrev_b32_e32 v6, 2, v10
	s_or_b32 s7, vcc_lo, s7
	s_delay_alu instid0(VALU_DEP_1)
	v_add3_u32 v5, 0, v5, v6
	s_wait_loadcnt 0x0
	ds_store_b32 v5, v1
	s_and_not1_b32 exec_lo, exec_lo, s7
	s_cbranch_execnz .LBB0_4
; %bb.5:
	s_or_b32 exec_lo, exec_lo, s7
.LBB0_6:
	v_mul_u32_u24_e32 v1, 0xf10, v3
	global_wb scope:SCOPE_SE
	s_wait_dscnt 0x0
	s_wait_kmcnt 0x0
	s_barrier_signal -1
	s_barrier_wait -1
	global_inv scope:SCOPE_SE
	v_lshrrev_b32_e32 v1, 16, v1
	s_load_b64 s[0:1], s[0:1], 0x60
	s_and_not1_b32 vcc_lo, exec_lo, s3
	s_mov_b32 s3, -1
	s_delay_alu instid0(VALU_DEP_1) | instskip(NEXT) | instid1(VALU_DEP_1)
	v_add_nc_u32_e32 v1, s6, v1
	v_mul_hi_u32 v2, 0x24924925, v1
	s_delay_alu instid0(VALU_DEP_1) | instskip(NEXT) | instid1(VALU_DEP_1)
	v_sub_nc_u32_e32 v3, v1, v2
	v_lshrrev_b32_e32 v3, 1, v3
	s_delay_alu instid0(VALU_DEP_1) | instskip(SKIP_1) | instid1(VALU_DEP_2)
	v_add_nc_u32_e32 v2, v3, v2
	v_mul_hi_u32 v3, 0xf0f0f10, v0
	v_lshrrev_b32_e32 v2, 2, v2
	s_delay_alu instid0(VALU_DEP_2) | instskip(NEXT) | instid1(VALU_DEP_2)
	v_mul_u32_u24_e32 v3, 17, v3
	v_mul_lo_u32 v2, v2, 7
	s_delay_alu instid0(VALU_DEP_2) | instskip(NEXT) | instid1(VALU_DEP_2)
	v_sub_nc_u32_e32 v18, v0, v3
	v_sub_nc_u32_e32 v1, v1, v2
	s_delay_alu instid0(VALU_DEP_2) | instskip(NEXT) | instid1(VALU_DEP_2)
	v_lshlrev_b32_e32 v2, 2, v18
	v_mul_u32_u24_e32 v1, 0x122, v1
	s_delay_alu instid0(VALU_DEP_1) | instskip(NEXT) | instid1(VALU_DEP_1)
	v_lshlrev_b32_e32 v1, 2, v1
	v_add_nc_u32_e32 v19, 0, v1
	s_delay_alu instid0(VALU_DEP_4)
	v_add3_u32 v15, 0, v2, v1
	ds_load_2addr_b32 v[44:45], v15 offset0:17 offset1:34
	ds_load_2addr_b32 v[13:14], v15 offset0:51 offset1:68
	;; [unrolled: 1-line block ×4, first 2 shown]
	v_add_nc_u32_e32 v16, v19, v2
	v_add_nc_u32_e32 v17, 0x200, v15
	ds_load_2addr_b32 v[7:8], v15 offset0:153 offset1:170
	ds_load_2addr_b32 v[5:6], v15 offset0:187 offset1:204
	;; [unrolled: 1-line block ×3, first 2 shown]
	ds_load_b32 v32, v16
	ds_load_2addr_b32 v[1:2], v17 offset0:127 offset1:144
	v_mad_u32_u24 v19, 0x44, v18, v19
	global_wb scope:SCOPE_SE
	s_wait_dscnt 0x0
	s_wait_kmcnt 0x0
	s_barrier_signal -1
	s_barrier_wait -1
	global_inv scope:SCOPE_SE
	v_lshrrev_b32_e32 v46, 16, v44
	v_lshrrev_b32_e32 v47, 16, v45
	;; [unrolled: 1-line block ×5, first 2 shown]
	v_add_f16_e32 v26, v6, v11
	v_add_f16_e32 v30, v4, v13
	v_sub_f16_e32 v31, v13, v4
	v_lshrrev_b32_e32 v51, 16, v32
	v_lshrrev_b32_e32 v50, 16, v2
	v_add_f16_e32 v52, v2, v44
	v_sub_f16_e32 v53, v44, v2
	v_add_f16_e32 v44, v44, v32
	v_sub_f16_e32 v27, v11, v6
	;; [unrolled: 2-line block ×3, first 2 shown]
	v_add_f16_e32 v46, v46, v51
	v_add_f16_e32 v44, v44, v45
	v_lshrrev_b32_e32 v36, 16, v12
	v_lshrrev_b32_e32 v35, 16, v9
	v_add_f16_e32 v20, v8, v9
	v_add_f16_e32 v46, v46, v47
	;; [unrolled: 1-line block ×3, first 2 shown]
	v_sub_f16_e32 v21, v9, v8
	v_lshrrev_b32_e32 v33, 16, v10
	v_lshrrev_b32_e32 v34, 16, v7
	v_add_f16_e32 v46, v46, v48
	v_add_f16_e32 v13, v13, v14
	;; [unrolled: 1-line block ×3, first 2 shown]
	v_sub_f16_e32 v23, v10, v7
	v_lshrrev_b32_e32 v37, 16, v8
	v_add_f16_e32 v46, v46, v39
	v_add_f16_e32 v11, v13, v11
	v_lshrrev_b32_e32 v40, 16, v5
	v_add_f16_e32 v24, v5, v12
	v_sub_f16_e32 v25, v12, v5
	v_add_f16_e32 v46, v46, v38
	v_add_f16_e32 v11, v11, v12
	v_lshrrev_b32_e32 v41, 16, v6
	v_lshrrev_b32_e32 v42, 16, v3
	v_add_f16_e32 v28, v3, v14
	v_add_f16_e32 v46, v46, v36
	;; [unrolled: 1-line block ×3, first 2 shown]
	v_sub_f16_e32 v29, v14, v3
	v_lshrrev_b32_e32 v43, 16, v4
	v_lshrrev_b32_e32 v49, 16, v1
	v_add_f16_e32 v46, v46, v35
	v_add_f16_e32 v9, v9, v10
	;; [unrolled: 1-line block ×3, first 2 shown]
	v_sub_f16_e32 v55, v45, v1
	v_mul_f16_e32 v60, 0xb5c8, v53
	v_add_f16_e32 v46, v46, v33
	v_add_f16_e32 v7, v9, v7
	v_mul_f16_e32 v61, 0xb964, v53
	v_mul_f16_e32 v62, 0xbb29, v53
	;; [unrolled: 1-line block ×3, first 2 shown]
	v_add_f16_e32 v46, v46, v34
	v_add_f16_e32 v7, v7, v8
	v_mul_f16_e32 v64, 0xbbb2, v53
	v_mul_f16_e32 v65, 0xba62, v53
	;; [unrolled: 1-line block ×3, first 2 shown]
	v_add_f16_e32 v56, v43, v48
	v_add_f16_e32 v5, v7, v5
	;; [unrolled: 1-line block ×3, first 2 shown]
	v_sub_f16_e32 v57, v48, v43
	v_add_f16_e32 v67, v49, v47
	v_sub_f16_e32 v68, v47, v49
	v_add_f16_e32 v5, v5, v6
	v_add_f16_e32 v6, v7, v40
	v_sub_f16_e32 v7, v36, v40
	v_mul_f16_e32 v73, 0x3836, v55
	v_mul_f16_e32 v45, 0xb5c8, v59
	v_add_f16_e32 v3, v5, v3
	v_add_f16_e32 v5, v6, v41
	;; [unrolled: 1-line block ×3, first 2 shown]
	v_pack_b32_f16 v36, v53, v52
	v_fmamk_f16 v74, v58, 0x3b76, v60
	v_add_f16_e32 v3, v3, v4
	v_add_f16_e32 v4, v5, v42
	v_fma_f16 v60, v58, 0x3b76, -v60
	v_mul_f16_e32 v75, 0xb964, v59
	v_fmamk_f16 v76, v58, 0x39e9, v61
	v_add_f16_e32 v1, v3, v1
	v_add_f16_e32 v3, v4, v43
	v_fma_f16 v61, v58, 0x39e9, -v61
	v_mul_f16_e32 v77, 0xbb29, v59
	;; [unrolled: 5-line block ×3, first 2 shown]
	v_fmamk_f16 v80, v58, 0x2de8, v63
	v_fma_f16 v63, v58, 0x2de8, -v63
	v_mul_f16_e32 v81, 0xbbb2, v59
	v_fmamk_f16 v82, v58, 0xb461, v64
	v_fma_f16 v64, v58, 0xb461, -v64
	v_mul_f16_e32 v83, 0xba62, v59
	;; [unrolled: 3-line block ×3, first 2 shown]
	v_fmamk_f16 v14, v58, 0xbacd, v66
	v_fma_f16 v48, v58, 0xbacd, -v66
	v_add_f16_e32 v2, v2, v50
	v_pack_b32_f16 v58, v58, v59
	v_pk_mul_f16 v36, 0xbbddb1e1, v36
	v_mul_f16_e32 v69, 0xb964, v55
	v_mul_f16_e32 v66, 0xb964, v68
	;; [unrolled: 1-line block ×6, first 2 shown]
	v_fmamk_f16 v9, v67, 0xbacd, v73
	v_fma_f16 v88, v52, 0x3b76, -v45
	v_fmac_f16_e32 v45, 0x3b76, v52
	v_fma_f16 v8, v52, 0x39e9, -v75
	v_fmac_f16_e32 v75, 0x39e9, v52
	;; [unrolled: 2-line block ×7, first 2 shown]
	v_add_f16_e32 v49, v42, v39
	v_sub_f16_e32 v39, v39, v42
	v_add_f16_e32 v42, v41, v38
	v_sub_f16_e32 v38, v38, v41
	v_mul_f16_e32 v41, 0x3bb2, v68
	v_add_f16_e32 v4, v37, v35
	v_sub_f16_e32 v5, v35, v37
	v_lshlrev_b32_e32 v35, 16, v2
	v_and_b32_e32 v1, 0xffff, v1
	v_add_f16_e32 v2, v34, v33
	v_sub_f16_e32 v3, v33, v34
	v_fma_f16 v34, v67, 0xbacd, -v73
	v_add_f16_e32 v40, v74, v51
	v_add_f16_e32 v50, v60, v51
	;; [unrolled: 1-line block ×14, first 2 shown]
	v_pk_fma_f16 v51, 0xb1e1bbdd, v58, v36 neg_lo:[0,1,0] neg_hi:[0,1,0]
	v_pk_fma_f16 v59, 0xb1e1bbdd, v58, v36
	v_pk_fma_f16 v36, 0xb1e1bbdd, v58, v36 neg_lo:[0,0,1] neg_hi:[0,0,1]
	v_mul_f16_e32 v58, 0x3b29, v68
	v_mul_f16_e32 v70, 0xbbf7, v55
	;; [unrolled: 1-line block ×4, first 2 shown]
	v_fmamk_f16 v13, v67, 0x39e9, v69
	v_fma_f16 v93, v54, 0x39e9, -v66
	v_fmac_f16_e32 v66, 0x39e9, v54
	v_fma_f16 v94, v54, 0x2de8, -v84
	v_fmac_f16_e32 v84, 0x2de8, v54
	;; [unrolled: 2-line block ×5, first 2 shown]
	v_mul_f16_e32 v33, 0x3bb2, v55
	v_or_b32_e32 v1, v35, v1
	v_fma_f16 v35, v54, 0xb461, -v41
	v_fmac_f16_e32 v41, 0xb461, v54
	v_add_f16_e32 v74, v88, v32
	v_add_f16_e32 v45, v45, v32
	;; [unrolled: 1-line block ×14, first 2 shown]
	v_pk_add_f16 v51, v51, v32 op_sel:[0,1] op_sel_hi:[1,0]
	v_pk_add_f16 v59, v59, v32 op_sel:[0,1] op_sel_hi:[1,0]
	;; [unrolled: 1-line block ×3, first 2 shown]
	v_mul_f16_e32 v36, 0x3b29, v55
	v_fma_f16 v88, v54, 0x3722, -v58
	v_fmac_f16_e32 v58, 0x3722, v54
	v_pack_b32_f16 v54, v55, v54
	v_fma_f16 v69, v67, 0x39e9, -v69
	v_fmamk_f16 v12, v67, 0x2de8, v70
	v_fma_f16 v70, v67, 0x2de8, -v70
	v_fmamk_f16 v11, v67, 0xb8d2, v71
	;; [unrolled: 2-line block ×4, first 2 shown]
	v_fma_f16 v33, v67, 0xb461, -v33
	v_add_f16_e32 v13, v13, v40
	v_fmamk_f16 v40, v67, 0x3722, v36
	v_add_f16_e32 v45, v66, v45
	v_mul_f16_e32 v66, 0xbb29, v57
	v_fma_f16 v36, v67, 0x3722, -v36
	v_add_f16_e32 v75, v84, v75
	v_mul_f16_e32 v84, 0xba62, v57
	v_add_f16_e32 v77, v85, v77
	v_mul_f16_e32 v85, 0x31e1, v57
	v_add_f16_e32 v78, v86, v78
	v_mul_f16_e32 v86, 0x3bb2, v57
	v_add_f16_e32 v80, v87, v80
	v_mul_f16_e32 v87, 0x3964, v57
	v_add_f16_e32 v41, v41, v82
	v_mul_f16_e32 v82, 0xb5c8, v57
	v_pack_b32_f16 v67, v67, v68
	v_pk_mul_f16 v54, 0x3b7635c8, v54
	v_fma_f16 v89, v30, 0x3722, -v66
	v_fmac_f16_e32 v66, 0x3722, v30
	v_add_f16_e32 v43, v43, v76
	v_fma_f16 v76, v30, 0xb8d2, -v84
	v_fmac_f16_e32 v84, 0xb8d2, v30
	v_fma_f16 v90, v30, 0xbbdd, -v85
	v_fmac_f16_e32 v85, 0xbbdd, v30
	;; [unrolled: 2-line block ×3, first 2 shown]
	v_add_f16_e32 v35, v35, v81
	v_fma_f16 v81, v30, 0x39e9, -v87
	v_fmac_f16_e32 v87, 0x39e9, v30
	v_mul_f16_e32 v55, 0xb5c8, v31
	v_add_f16_e32 v33, v33, v47
	v_fma_f16 v47, v30, 0x3b76, -v82
	v_fmac_f16_e32 v82, 0x3b76, v30
	v_add_f16_e32 v83, v88, v83
	v_add_f16_e32 v14, v40, v14
	v_pk_fma_f16 v40, 0x35c83b76, v67, v54 neg_lo:[0,1,0] neg_hi:[0,1,0]
	v_mul_f16_e32 v88, 0xbbf7, v57
	v_add_f16_e32 v36, v36, v48
	v_pk_fma_f16 v48, 0x35c83b76, v67, v54
	v_add_f16_e32 v74, v93, v74
	v_add_f16_e32 v50, v69, v50
	v_mul_f16_e32 v69, 0xbb29, v31
	v_add_f16_e32 v8, v94, v8
	v_add_f16_e32 v53, v70, v53
	v_mul_f16_e32 v70, 0xba62, v31
	v_add_f16_e32 v61, v71, v61
	v_mul_f16_e32 v71, 0x31e1, v31
	v_add_f16_e32 v46, v95, v46
	v_add_f16_e32 v63, v72, v63
	v_mul_f16_e32 v72, 0x3bb2, v31
	v_add_f16_e32 v79, v96, v79
	v_add_f16_e32 v34, v34, v64
	v_mul_f16_e32 v64, 0x3964, v31
	v_fmamk_f16 v68, v56, 0x3b76, v55
	v_fma_f16 v55, v56, 0x3b76, -v55
	v_add_f16_e32 v58, v58, v65
	v_mul_f16_e32 v65, 0xbbf7, v31
	v_pk_add_f16 v40, v40, v51
	v_fma_f16 v51, v30, 0x2de8, -v88
	v_fmac_f16_e32 v88, 0x2de8, v30
	v_pk_add_f16 v48, v48, v59
	v_mul_f16_e32 v59, 0xbbf7, v39
	v_add_f16_e32 v45, v66, v45
	v_mul_f16_e32 v66, 0xb1e1, v39
	v_add_f16_e32 v75, v84, v75
	;; [unrolled: 2-line block ×6, first 2 shown]
	v_mul_f16_e32 v82, 0x3a62, v39
	v_pack_b32_f16 v30, v31, v30
	v_add_f16_e32 v12, v12, v52
	v_fmamk_f16 v52, v56, 0x3722, v69
	v_fma_f16 v69, v56, 0x3722, -v69
	v_add_f16_e32 v11, v11, v60
	v_fmamk_f16 v60, v56, 0xb8d2, v70
	v_fma_f16 v70, v56, 0xb8d2, -v70
	;; [unrolled: 3-line block ×5, first 2 shown]
	v_pk_fma_f16 v54, 0x35c83b76, v67, v54 neg_lo:[0,0,1] neg_hi:[0,0,1]
	v_fmamk_f16 v67, v56, 0x2de8, v65
	v_fma_f16 v65, v56, 0x2de8, -v65
	v_add_f16_e32 v74, v89, v74
	v_fma_f16 v89, v28, 0x2de8, -v59
	v_fmac_f16_e32 v59, 0x2de8, v28
	v_add_f16_e32 v8, v76, v8
	v_fma_f16 v76, v28, 0xbbdd, -v66
	v_fmac_f16_e32 v66, 0xbbdd, v28
	;; [unrolled: 3-line block ×6, first 2 shown]
	v_add_f16_e32 v33, v55, v33
	v_fma_f16 v55, v28, 0xb8d2, -v82
	v_pack_b32_f16 v56, v56, v57
	v_pk_mul_f16 v30, 0xbacdb836, v30
	v_fmac_f16_e32 v82, 0xb8d2, v28
	v_pack_b32_f16 v28, v29, v28
	v_pk_add_f16 v32, v54, v32
	v_mul_f16_e32 v54, 0xbbf7, v29
	v_add_f16_e32 v50, v69, v50
	v_mul_f16_e32 v69, 0xb1e1, v29
	v_mul_f16_e32 v31, 0x3a62, v29
	v_add_f16_e32 v51, v51, v83
	v_add_f16_e32 v14, v67, v14
	v_pk_fma_f16 v67, 0xb836bacd, v56, v30 neg_lo:[0,1,0] neg_hi:[0,1,0]
	v_add_f16_e32 v36, v65, v36
	v_pk_fma_f16 v65, 0xb836bacd, v56, v30
	v_pack_b32_f16 v39, v49, v39
	v_pk_mul_f16 v28, 0x39e93964, v28
	v_add_f16_e32 v13, v52, v13
	v_fmamk_f16 v52, v49, 0x2de8, v54
	v_fma_f16 v54, v49, 0x2de8, -v54
	v_add_f16_e32 v12, v60, v12
	v_fmamk_f16 v60, v49, 0xbbdd, v69
	v_add_f16_e32 v53, v70, v53
	v_mul_f16_e32 v70, 0x3bb2, v29
	v_fma_f16 v69, v49, 0xbbdd, -v69
	v_add_f16_e32 v61, v71, v61
	v_mul_f16_e32 v71, 0x35c8, v29
	v_add_f16_e32 v63, v72, v63
	v_mul_f16_e32 v72, 0xbb29, v29
	v_fmamk_f16 v57, v49, 0xb8d2, v31
	v_fma_f16 v31, v49, 0xb8d2, -v31
	v_mul_f16_e32 v83, 0xbbb2, v38
	v_pk_add_f16 v40, v67, v40
	v_pk_fma_f16 v30, 0xb836bacd, v56, v30 neg_lo:[0,0,1] neg_hi:[0,0,1]
	v_pk_add_f16 v48, v65, v48
	v_mul_f16_e32 v65, 0x3836, v38
	v_add_f16_e32 v45, v59, v45
	v_mul_f16_e32 v59, 0x3964, v38
	v_add_f16_e32 v66, v66, v75
	;; [unrolled: 2-line block ×6, first 2 shown]
	v_pk_fma_f16 v55, 0x396439e9, v39, v28 neg_lo:[0,1,0] neg_hi:[0,1,0]
	v_add_f16_e32 v11, v62, v11
	v_fmamk_f16 v62, v49, 0xb461, v70
	v_fma_f16 v70, v49, 0xb461, -v70
	v_add_f16_e32 v10, v73, v10
	v_fmamk_f16 v73, v49, 0x3b76, v71
	v_fma_f16 v71, v49, 0x3b76, -v71
	v_add_f16_e32 v9, v44, v9
	v_fmamk_f16 v44, v49, 0x3722, v72
	v_add_f16_e32 v34, v64, v34
	v_mul_f16_e32 v64, 0xb836, v29
	v_fma_f16 v72, v49, 0x3722, -v72
	v_add_f16_e32 v58, v88, v58
	v_mul_f16_e32 v88, 0xbbb2, v27
	v_fma_f16 v67, v26, 0xb461, -v83
	v_fmac_f16_e32 v83, 0xb461, v26
	v_pk_add_f16 v30, v30, v32
	v_mul_f16_e32 v32, 0x3836, v27
	v_add_f16_e32 v74, v89, v74
	v_fma_f16 v89, v26, 0xbacd, -v65
	v_fmac_f16_e32 v65, 0xbacd, v26
	v_add_f16_e32 v50, v54, v50
	v_mul_f16_e32 v54, 0x3964, v27
	v_add_f16_e32 v8, v76, v8
	v_fma_f16 v76, v26, 0x39e9, -v59
	v_fmac_f16_e32 v59, 0x39e9, v26
	v_add_f16_e32 v53, v69, v53
	;; [unrolled: 5-line block ×3, first 2 shown]
	v_fma_f16 v91, v26, 0xbbdd, -v84
	v_fmac_f16_e32 v84, 0xbbdd, v26
	v_add_f16_e32 v79, v81, v79
	v_fma_f16 v81, v26, 0x2de8, -v85
	v_fmac_f16_e32 v85, 0x2de8, v26
	v_add_f16_e32 v35, v47, v35
	;; [unrolled: 3-line block ×3, first 2 shown]
	v_pk_add_f16 v36, v55, v40
	v_pk_fma_f16 v40, 0x396439e9, v39, v28
	v_pack_b32_f16 v26, v27, v26
	v_add_f16_e32 v37, v68, v37
	v_fmamk_f16 v68, v49, 0xbacd, v64
	v_fma_f16 v64, v49, 0xbacd, -v64
	v_fmamk_f16 v56, v42, 0xb461, v88
	v_fma_f16 v88, v42, 0xb461, -v88
	v_add_f16_e32 v13, v52, v13
	v_fmamk_f16 v52, v42, 0xbacd, v32
	v_fma_f16 v32, v42, 0xbacd, -v32
	v_add_f16_e32 v12, v60, v12
	;; [unrolled: 3-line block ×3, first 2 shown]
	v_fmamk_f16 v62, v42, 0x3722, v69
	v_add_f16_e32 v61, v70, v61
	v_mul_f16_e32 v70, 0xb1e1, v27
	v_fma_f16 v69, v42, 0x3722, -v69
	v_add_f16_e32 v63, v71, v63
	v_add_f16_e32 v34, v72, v34
	v_mul_f16_e32 v72, 0xb5c8, v27
	v_add_f16_e32 v41, v87, v41
	v_mul_f16_e32 v87, 0xba62, v7
	v_add_f16_e32 v14, v57, v14
	v_mul_f16_e32 v57, 0x3bb2, v7
	v_pk_fma_f16 v28, 0x396439e9, v39, v28 neg_lo:[0,0,1] neg_hi:[0,0,1]
	v_pk_add_f16 v40, v40, v48
	v_mul_f16_e32 v48, 0xb5c8, v7
	v_add_f16_e32 v45, v83, v45
	v_mul_f16_e32 v83, 0xb836, v7
	v_add_f16_e32 v65, v65, v66
	;; [unrolled: 2-line block ×4, first 2 shown]
	v_mul_f16_e32 v78, 0xb1e1, v7
	v_pack_b32_f16 v38, v42, v38
	v_pk_mul_f16 v26, 0xb8d2ba62, v26
	v_add_f16_e32 v10, v73, v10
	v_fmamk_f16 v73, v42, 0xbbdd, v70
	v_mul_f16_e32 v71, 0x3bf7, v27
	v_add_f16_e32 v9, v44, v9
	v_add_f16_e32 v37, v68, v37
	v_fmamk_f16 v68, v42, 0x3b76, v72
	v_mul_f16_e32 v29, 0xba62, v25
	v_fma_f16 v72, v42, 0x3b76, -v72
	v_add_f16_e32 v33, v64, v33
	v_fma_f16 v64, v24, 0xb8d2, -v87
	v_fmac_f16_e32 v87, 0xb8d2, v24
	v_add_f16_e32 v58, v82, v58
	v_mul_f16_e32 v82, 0x3bb2, v25
	v_fma_f16 v55, v24, 0xb461, -v57
	v_fmac_f16_e32 v57, 0xb461, v24
	v_pk_add_f16 v28, v28, v30
	v_mul_f16_e32 v30, 0xb5c8, v25
	v_add_f16_e32 v67, v67, v74
	v_fma_f16 v74, v24, 0x3b76, -v48
	v_fmac_f16_e32 v48, 0x3b76, v24
	v_add_f16_e32 v50, v88, v50
	v_mul_f16_e32 v88, 0xb836, v25
	v_add_f16_e32 v8, v89, v8
	v_fma_f16 v89, v24, 0xbacd, -v83
	v_fmac_f16_e32 v83, 0xbacd, v24
	v_add_f16_e32 v32, v32, v53
	;; [unrolled: 5-line block ×5, first 2 shown]
	v_pk_fma_f16 v51, 0xba62b8d2, v38, v26 neg_lo:[0,1,0] neg_hi:[0,1,0]
	v_pack_b32_f16 v24, v25, v24
	v_fma_f16 v70, v42, 0xbbdd, -v70
	v_fmamk_f16 v44, v42, 0x2de8, v71
	v_fma_f16 v71, v42, 0x2de8, -v71
	v_fmamk_f16 v49, v6, 0xb8d2, v29
	;; [unrolled: 2-line block ×3, first 2 shown]
	v_fma_f16 v82, v6, 0xb461, -v82
	v_add_f16_e32 v13, v56, v13
	v_fmamk_f16 v56, v6, 0x3b76, v30
	v_fma_f16 v30, v6, 0x3b76, -v30
	v_add_f16_e32 v12, v52, v12
	v_fmamk_f16 v52, v6, 0xbacd, v88
	v_fma_f16 v88, v6, 0xbacd, -v88
	v_add_f16_e32 v11, v60, v11
	v_fmamk_f16 v60, v6, 0x2de8, v53
	v_fma_f16 v53, v6, 0x2de8, -v53
	v_add_f16_e32 v10, v62, v10
	v_fmamk_f16 v62, v6, 0x39e9, v61
	v_fma_f16 v61, v6, 0x39e9, -v61
	v_add_f16_e32 v9, v73, v9
	v_fmamk_f16 v73, v6, 0xbbdd, v69
	v_add_f16_e32 v80, v84, v80
	v_mul_f16_e32 v84, 0xb836, v5
	v_fma_f16 v69, v6, 0xbbdd, -v69
	v_add_f16_e32 v41, v85, v41
	v_mul_f16_e32 v85, 0x3b29, v5
	v_add_f16_e32 v31, v72, v31
	v_pk_add_f16 v36, v51, v36
	v_pk_fma_f16 v51, 0xba62b8d2, v38, v26
	v_pack_b32_f16 v6, v6, v7
	v_pk_mul_f16 v24, 0x37223b29, v24
	v_add_f16_e32 v34, v70, v34
	v_mul_f16_e32 v70, 0xb836, v21
	v_add_f16_e32 v35, v81, v35
	v_fma_f16 v81, v20, 0xbacd, -v84
	v_fmac_f16_e32 v84, 0xbacd, v20
	v_mul_f16_e32 v27, 0x3b29, v21
	v_add_f16_e32 v33, v71, v33
	v_fma_f16 v71, v20, 0x3722, -v85
	v_fmac_f16_e32 v85, 0x3722, v20
	v_add_f16_e32 v14, v68, v14
	v_mul_f16_e32 v68, 0xbbf7, v5
	v_pk_fma_f16 v26, 0xba62b8d2, v38, v26 neg_lo:[0,0,1] neg_hi:[0,0,1]
	v_pk_add_f16 v40, v51, v40
	v_mul_f16_e32 v51, 0x3a62, v5
	v_add_f16_e32 v45, v87, v45
	v_mul_f16_e32 v87, 0xb5c8, v5
	v_add_f16_e32 v57, v57, v65
	;; [unrolled: 2-line block ×4, first 2 shown]
	v_pk_fma_f16 v69, 0x3b293722, v6, v24
	v_add_f16_e32 v37, v44, v37
	v_fmamk_f16 v44, v4, 0xbacd, v70
	v_fma_f16 v70, v4, 0xbacd, -v70
	v_fmamk_f16 v42, v4, 0x3722, v27
	v_fma_f16 v27, v4, 0x3722, -v27
	v_add_f16_e32 v58, v86, v58
	v_mul_f16_e32 v86, 0xbbf7, v21
	v_fma_f16 v72, v20, 0x2de8, -v68
	v_fmac_f16_e32 v68, 0x2de8, v20
	v_pk_add_f16 v26, v26, v28
	v_mul_f16_e32 v28, 0x3a62, v21
	v_add_f16_e32 v64, v64, v67
	v_fma_f16 v67, v20, 0xb8d2, -v51
	v_fmac_f16_e32 v51, 0xb8d2, v20
	v_add_f16_e32 v29, v29, v50
	v_mul_f16_e32 v50, 0xb5c8, v21
	v_add_f16_e32 v8, v55, v8
	v_fma_f16 v55, v20, 0x3b76, -v87
	v_fmac_f16_e32 v87, 0x3b76, v20
	v_add_f16_e32 v32, v82, v32
	v_mul_f16_e32 v82, 0xb1e1, v21
	v_add_f16_e32 v43, v74, v43
	v_fma_f16 v74, v20, 0xbbdd, -v65
	v_fmac_f16_e32 v65, 0xbbdd, v20
	v_add_f16_e32 v30, v30, v54
	v_mul_f16_e32 v54, 0x3964, v21
	v_add_f16_e32 v46, v89, v46
	v_fma_f16 v89, v20, 0x39e9, -v59
	v_fmac_f16_e32 v59, 0x39e9, v20
	v_add_f16_e32 v75, v83, v75
	v_mul_f16_e32 v83, 0xb1e1, v3
	v_add_f16_e32 v66, v66, v80
	v_mul_f16_e32 v80, 0x35c8, v3
	v_add_f16_e32 v41, v77, v41
	;; [unrolled: 2-line block ×3, first 2 shown]
	v_add_f16_e32 v14, v73, v14
	v_pk_fma_f16 v73, 0x3b293722, v6, v24 neg_lo:[0,1,0] neg_hi:[0,1,0]
	v_mul_f16_e32 v91, 0x3964, v3
	v_pk_fma_f16 v6, 0x3b293722, v6, v24 neg_lo:[0,0,1] neg_hi:[0,0,1]
	v_pk_add_f16 v40, v69, v40
	v_mul_f16_e32 v69, 0xba62, v3
	v_add_f16_e32 v45, v84, v45
	v_mul_f16_e32 v84, 0x3b29, v3
	v_add_f16_e32 v57, v85, v57
	v_mul_f16_e32 v85, 0xbbb2, v3
	v_pack_b32_f16 v20, v21, v20
	v_fmamk_f16 v38, v4, 0x2de8, v86
	v_fma_f16 v86, v4, 0x2de8, -v86
	v_add_f16_e32 v13, v49, v13
	v_fmamk_f16 v49, v4, 0xb8d2, v28
	v_fma_f16 v28, v4, 0xb8d2, -v28
	v_add_f16_e32 v12, v39, v12
	;; [unrolled: 3-line block ×4, first 2 shown]
	v_fmamk_f16 v52, v4, 0x39e9, v54
	v_add_f16_e32 v63, v88, v63
	v_mul_f16_e32 v88, 0xb1e1, v23
	v_fma_f16 v54, v4, 0x39e9, -v54
	v_add_f16_e32 v76, v76, v79
	v_fma_f16 v79, v22, 0xbbdd, -v83
	v_fmac_f16_e32 v83, 0xbbdd, v22
	v_add_f16_e32 v34, v53, v34
	v_mul_f16_e32 v53, 0x35c8, v23
	v_add_f16_e32 v35, v90, v35
	v_fma_f16 v90, v22, 0x3b76, -v80
	v_add_f16_e32 v37, v62, v37
	v_fmac_f16_e32 v80, 0x3b76, v22
	v_mul_f16_e32 v25, 0xb836, v23
	v_add_f16_e32 v33, v61, v33
	v_fma_f16 v61, v22, 0xbacd, -v77
	v_fmac_f16_e32 v77, 0xbacd, v22
	v_add_f16_e32 v58, v78, v58
	v_mul_f16_e32 v78, 0x3964, v23
	v_pk_add_f16 v36, v73, v36
	v_fma_f16 v73, v22, 0x39e9, -v91
	v_fmac_f16_e32 v91, 0x39e9, v22
	v_pk_add_f16 v6, v6, v26
	v_mul_f16_e32 v26, 0xba62, v23
	v_add_f16_e32 v64, v81, v64
	v_fma_f16 v81, v22, 0xb8d2, -v69
	v_fmac_f16_e32 v69, 0xb8d2, v22
	v_add_f16_e32 v29, v70, v29
	v_mul_f16_e32 v70, 0x3b29, v23
	v_add_f16_e32 v8, v71, v8
	v_fma_f16 v71, v22, 0x3722, -v84
	v_fmac_f16_e32 v84, 0x3722, v22
	v_add_f16_e32 v27, v27, v32
	v_mul_f16_e32 v32, 0xbbb2, v23
	v_add_f16_e32 v43, v72, v43
	v_fma_f16 v72, v22, 0xb461, -v85
	v_fmac_f16_e32 v85, 0xb461, v22
	v_pack_b32_f16 v4, v4, v5
	v_pk_mul_f16 v5, 0xb461bbb2, v20
	v_pack_b32_f16 v22, v23, v22
	v_add_f16_e32 v9, v60, v9
	v_fmamk_f16 v60, v2, 0xbbdd, v88
	v_fma_f16 v88, v2, 0xbbdd, -v88
	v_fmamk_f16 v62, v2, 0x3b76, v53
	v_fma_f16 v53, v2, 0x3b76, -v53
	;; [unrolled: 2-line block ×4, first 2 shown]
	v_add_f16_e32 v13, v44, v13
	v_fmamk_f16 v44, v2, 0xb8d2, v26
	v_fma_f16 v26, v2, 0xb8d2, -v26
	v_add_f16_e32 v12, v42, v12
	v_fmamk_f16 v42, v2, 0x3722, v70
	v_fma_f16 v70, v2, 0x3722, -v70
	;; [unrolled: 3-line block ×3, first 2 shown]
	v_add_f16_e32 v21, v50, v34
	v_add_f16_e32 v34, v74, v35
	;; [unrolled: 1-line block ×7, first 2 shown]
	v_pk_fma_f16 v41, 0xbbb2b461, v4, v5 neg_lo:[0,1,0] neg_hi:[0,1,0]
	v_pk_fma_f16 v47, 0xbbb2b461, v4, v5
	v_pk_fma_f16 v4, 0xbbb2b461, v4, v5 neg_lo:[0,0,1] neg_hi:[0,0,1]
	v_pack_b32_f16 v2, v2, v3
	v_pk_mul_f16 v3, 0x2de83bf7, v22
	v_add_f16_e32 v30, v86, v30
	v_add_f16_e32 v46, v67, v46
	;; [unrolled: 1-line block ×8, first 2 shown]
	v_pk_add_f16 v36, v41, v36
	v_pk_add_f16 v40, v47, v40
	;; [unrolled: 1-line block ×3, first 2 shown]
	v_add_f16_e32 v8, v90, v8
	v_add_f16_e32 v12, v62, v12
	;; [unrolled: 1-line block ×8, first 2 shown]
	v_pk_fma_f16 v34, 0x3bf72de8, v2, v3 neg_lo:[0,1,0] neg_hi:[0,1,0]
	v_pk_fma_f16 v35, 0x3bf72de8, v2, v3
	v_pk_fma_f16 v2, 0x3bf72de8, v2, v3 neg_lo:[0,0,1] neg_hi:[0,0,1]
	v_add_f16_e32 v28, v28, v63
	v_add_f16_e32 v48, v68, v48
	;; [unrolled: 1-line block ×14, first 2 shown]
	v_pk_add_f16 v31, v34, v36
	v_pk_add_f16 v32, v35, v40
	;; [unrolled: 1-line block ×3, first 2 shown]
	v_pack_b32_f16 v4, v8, v12
	v_pack_b32_f16 v8, v33, v14
	v_add_f16_e32 v24, v91, v49
	v_add_f16_e32 v28, v78, v28
	;; [unrolled: 1-line block ×9, first 2 shown]
	v_pack_b32_f16 v6, v6, v13
	v_pack_b32_f16 v10, v30, v10
	;; [unrolled: 1-line block ×5, first 2 shown]
	ds_store_2addr_b32 v19, v1, v8 offset1:7
	v_alignbit_b32 v1, v2, v32, 16
	v_alignbit_b32 v2, v32, v31, 16
	v_pack_b32_f16 v8, v20, v22
	v_pack_b32_f16 v3, v3, v5
	;; [unrolled: 1-line block ×7, first 2 shown]
	ds_store_2addr_b32 v19, v6, v4 offset0:1 offset1:2
	ds_store_2addr_b32 v19, v7, v10 offset0:3 offset1:4
	;; [unrolled: 1-line block ×7, first 2 shown]
	ds_store_b32 v19, v20 offset:64
	v_lshlrev_b32_e32 v5, 6, v18
	global_wb scope:SCOPE_SE
	s_wait_dscnt 0x0
	s_barrier_signal -1
	s_barrier_wait -1
	global_inv scope:SCOPE_SE
	s_clause 0x3
	global_load_b128 v[1:4], v5, s[4:5]
	global_load_b128 v[6:9], v5, s[4:5] offset:16
	global_load_b128 v[21:24], v5, s[4:5] offset:32
	;; [unrolled: 1-line block ×3, first 2 shown]
	ds_load_2addr_b32 v[10:11], v15 offset0:51 offset1:68
	ds_load_2addr_b32 v[12:13], v15 offset0:85 offset1:102
	;; [unrolled: 1-line block ×8, first 2 shown]
	ds_load_b32 v39, v16
	ds_load_u16 v5, v15 offset:206
	global_wb scope:SCOPE_SE
	s_wait_loadcnt_dscnt 0x0
	s_barrier_signal -1
	s_barrier_wait -1
	global_inv scope:SCOPE_SE
	s_mov_b32 s5, 0
	s_mul_i32 s4, s13, s10
	s_mov_b32 s7, s5
	s_wait_alu 0xfffe
	s_mul_u64 s[10:11], s[8:9], s[6:7]
	s_delay_alu instid0(SALU_CYCLE_1)
	s_add_nc_u64 s[4:5], s[10:11], s[4:5]
	v_lshrrev_b32_e32 v14, 16, v11
	v_lshrrev_b32_e32 v17, 16, v12
	;; [unrolled: 1-line block ×15, first 2 shown]
	s_mul_u64 s[10:11], s[20:21], s[14:15]
	s_delay_alu instid0(SALU_CYCLE_1) | instskip(SKIP_3) | instid1(VALU_DEP_3)
	s_add_nc_u64 s[4:5], s[4:5], s[10:11]
	v_lshrrev_b32_e32 v16, 16, v1
	v_lshrrev_b32_e32 v51, 16, v2
	v_lshrrev_b32_e32 v54, 16, v3
	v_mul_f16_e32 v53, v16, v20
	v_mul_f16_e32 v55, v16, v18
	v_lshrrev_b32_e32 v16, 16, v4
	v_mul_f16_e32 v56, v51, v52
	v_mul_f16_e32 v51, v51, v19
	v_fma_f16 v53, v1, v18, -v53
	v_fmac_f16_e32 v55, v1, v20
	v_mul_f16_e32 v1, v5, v54
	v_fma_f16 v56, v2, v19, -v56
	v_fmac_f16_e32 v51, v2, v52
	v_mul_f16_e32 v2, v14, v16
	v_mul_f16_e32 v54, v54, v10
	v_fma_f16 v52, v3, v10, -v1
	v_mul_f16_e32 v19, v11, v16
	v_lshrrev_b32_e32 v1, 16, v6
	v_fma_f16 v20, v11, v4, -v2
	v_lshrrev_b32_e32 v2, 16, v7
	v_fmac_f16_e32 v54, v5, v3
	v_fmac_f16_e32 v19, v14, v4
	v_lshrrev_b32_e32 v3, 16, v8
	v_mul_f16_e32 v4, v17, v1
	v_mul_f16_e32 v14, v12, v1
	;; [unrolled: 1-line block ×4, first 2 shown]
	v_lshrrev_b32_e32 v5, 16, v9
	v_fma_f16 v16, v12, v6, -v4
	v_fmac_f16_e32 v14, v17, v6
	v_fma_f16 v11, v13, v7, -v1
	v_mul_f16_e32 v1, v41, v3
	v_fmac_f16_e32 v10, v40, v7
	v_lshrrev_b32_e32 v40, 16, v39
	v_mul_f16_e32 v6, v29, v3
	v_mul_f16_e32 v3, v42, v5
	v_fma_f16 v7, v29, v8, -v1
	v_mul_f16_e32 v2, v30, v5
	v_add_f16_e32 v1, v55, v40
	v_add_f16_e32 v4, v53, v39
	v_fma_f16 v3, v30, v9, -v3
	v_lshrrev_b32_e32 v5, 16, v21
	v_fmac_f16_e32 v2, v42, v9
	v_add_f16_e32 v1, v1, v51
	v_add_f16_e32 v9, v4, v56
	v_fmac_f16_e32 v6, v41, v8
	v_lshrrev_b32_e32 v8, 16, v22
	v_lshrrev_b32_e32 v13, 16, v23
	v_add_f16_e32 v1, v1, v54
	v_add_f16_e32 v9, v9, v52
	v_mul_f16_e32 v12, v43, v5
	v_mul_f16_e32 v4, v31, v5
	;; [unrolled: 1-line block ×3, first 2 shown]
	v_add_f16_e32 v1, v1, v19
	v_add_f16_e32 v9, v9, v20
	v_fma_f16 v5, v31, v21, -v12
	v_fmac_f16_e32 v4, v43, v21
	v_mul_f16_e32 v12, v44, v8
	v_add_f16_e32 v1, v1, v14
	v_add_f16_e32 v21, v9, v16
	v_lshrrev_b32_e32 v17, 16, v24
	v_mul_f16_e32 v8, v32, v8
	v_fma_f16 v9, v32, v22, -v12
	v_fma_f16 v12, v33, v23, -v18
	v_add_f16_e32 v1, v1, v10
	v_add_f16_e32 v18, v21, v11
	v_fmac_f16_e32 v8, v44, v22
	v_mul_f16_e32 v21, v46, v17
	v_mul_f16_e32 v13, v33, v13
	v_add_f16_e32 v1, v1, v6
	v_add_f16_e32 v22, v18, v7
	v_mul_f16_e32 v17, v34, v17
	v_fma_f16 v18, v34, v24, -v21
	v_fmac_f16_e32 v13, v45, v23
	v_add_f16_e32 v1, v1, v2
	v_add_f16_e32 v21, v22, v3
	v_lshrrev_b32_e32 v22, 16, v25
	v_fmac_f16_e32 v17, v46, v24
	v_lshrrev_b32_e32 v23, 16, v26
	v_add_f16_e32 v1, v1, v4
	v_add_f16_e32 v21, v21, v5
	v_mul_f16_e32 v30, v47, v22
	v_mul_f16_e32 v22, v35, v22
	v_lshrrev_b32_e32 v24, 16, v27
	v_add_f16_e32 v1, v1, v8
	v_add_f16_e32 v21, v21, v9
	v_mul_f16_e32 v31, v48, v23
	v_fma_f16 v30, v35, v25, -v30
	v_fmac_f16_e32 v22, v47, v25
	v_add_f16_e32 v1, v1, v13
	v_add_f16_e32 v21, v21, v12
	v_mul_f16_e32 v23, v36, v23
	v_lshrrev_b32_e32 v29, 16, v28
	v_fma_f16 v25, v36, v26, -v31
	v_add_f16_e32 v1, v1, v17
	v_add_f16_e32 v21, v21, v18
	v_mul_f16_e32 v31, v49, v24
	v_mul_f16_e32 v24, v37, v24
	v_fmac_f16_e32 v23, v48, v26
	v_add_f16_e32 v1, v1, v22
	v_add_f16_e32 v21, v21, v30
	v_fma_f16 v26, v37, v27, -v31
	v_fmac_f16_e32 v24, v49, v27
	v_mul_f16_e32 v27, v50, v29
	v_mul_f16_e32 v29, v38, v29
	v_add_f16_e32 v1, v1, v23
	v_add_f16_e32 v21, v21, v25
	v_sub_f16_e32 v66, v51, v24
	v_fma_f16 v27, v38, v28, -v27
	v_fmac_f16_e32 v29, v50, v28
	v_add_f16_e32 v1, v1, v24
	v_add_f16_e32 v21, v21, v26
	;; [unrolled: 1-line block ×4, first 2 shown]
	v_sub_f16_e32 v28, v55, v29
	v_add_f16_e32 v1, v1, v29
	v_add_f16_e32 v21, v21, v27
	v_sub_f16_e32 v27, v53, v27
	v_add_f16_e32 v29, v55, v29
	v_mul_f16_e32 v32, 0xb5c8, v28
	v_lshlrev_b32_e32 v1, 16, v1
	v_and_b32_e32 v21, 0xffff, v21
	v_mul_f16_e32 v38, 0xbb29, v28
	v_mul_f16_e32 v45, 0xbbf7, v28
	;; [unrolled: 1-line block ×4, first 2 shown]
	v_or_b32_e32 v1, v1, v21
	v_mul_f16_e32 v21, 0xb964, v28
	v_mul_f16_e32 v61, 0xb836, v28
	;; [unrolled: 1-line block ×4, first 2 shown]
	v_fma_f16 v34, v31, 0x3b76, -v32
	v_fmac_f16_e32 v32, 0x3b76, v31
	v_fma_f16 v36, v31, 0x39e9, -v21
	v_mul_f16_e32 v37, 0xb964, v27
	v_fmac_f16_e32 v21, 0x39e9, v31
	v_mul_f16_e32 v42, 0xbb29, v27
	v_fma_f16 v43, v31, 0x3722, -v38
	v_fmac_f16_e32 v38, 0x3722, v31
	v_mul_f16_e32 v46, 0xbbf7, v27
	v_fma_f16 v47, v31, 0x2de8, -v45
	v_fmac_f16_e32 v45, 0x2de8, v31
	v_fma_f16 v50, v31, 0xb461, -v48
	v_mul_f16_e32 v53, 0xbbb2, v27
	v_fmac_f16_e32 v48, 0xb461, v31
	v_mul_f16_e32 v58, 0xba62, v27
	v_fma_f16 v59, v31, 0xb8d2, -v55
	v_fmac_f16_e32 v55, 0xb8d2, v31
	v_mul_f16_e32 v62, 0xb836, v27
	v_fma_f16 v63, v31, 0xbacd, -v61
	v_fmac_f16_e32 v61, 0xbacd, v31
	v_fma_f16 v65, v31, 0xbbdd, -v28
	v_mul_f16_e32 v27, 0xb1e1, v27
	v_fmac_f16_e32 v28, 0xbbdd, v31
	v_sub_f16_e32 v31, v56, v26
	v_fmamk_f16 v35, v29, 0x3b76, v33
	v_fma_f16 v33, v29, 0x3b76, -v33
	v_fmamk_f16 v41, v29, 0x39e9, v37
	v_fma_f16 v37, v29, 0x39e9, -v37
	;; [unrolled: 2-line block ×7, first 2 shown]
	v_fmamk_f16 v67, v29, 0xbbdd, v27
	v_add_f16_e32 v26, v56, v26
	v_mul_f16_e32 v56, 0xb964, v66
	v_fma_f16 v27, v29, 0xbbdd, -v27
	v_mul_f16_e32 v29, 0xb964, v31
	v_add_f16_e32 v34, v34, v39
	v_add_f16_e32 v35, v35, v40
	;; [unrolled: 1-line block ×30, first 2 shown]
	v_fma_f16 v67, v26, 0x39e9, -v56
	v_add_f16_e32 v28, v28, v39
	v_add_f16_e32 v27, v27, v40
	v_fmamk_f16 v39, v24, 0x39e9, v29
	v_mul_f16_e32 v40, 0xbbf7, v66
	v_fma_f16 v29, v24, 0x39e9, -v29
	v_add_f16_e32 v34, v67, v34
	v_fmac_f16_e32 v56, 0x39e9, v26
	v_add_f16_e32 v35, v39, v35
	v_fma_f16 v39, v26, 0x2de8, -v40
	v_mul_f16_e32 v67, 0xbbf7, v31
	v_add_f16_e32 v29, v29, v33
	v_mul_f16_e32 v33, 0xba62, v66
	v_add_f16_e32 v32, v56, v32
	v_add_f16_e32 v36, v39, v36
	v_fmamk_f16 v39, v24, 0x2de8, v67
	v_fmac_f16_e32 v40, 0x2de8, v26
	v_fma_f16 v56, v24, 0x2de8, -v67
	v_fma_f16 v67, v26, 0xb8d2, -v33
	v_mul_f16_e32 v68, 0xba62, v31
	v_add_f16_e32 v39, v39, v41
	v_add_f16_e32 v21, v40, v21
	v_add_f16_e32 v37, v56, v37
	v_add_f16_e32 v40, v67, v43
	v_fmamk_f16 v41, v24, 0xb8d2, v68
	v_mul_f16_e32 v43, 0xb1e1, v66
	v_fmac_f16_e32 v33, 0xb8d2, v26
	v_fma_f16 v56, v24, 0xb8d2, -v68
	v_mul_f16_e32 v67, 0xb1e1, v31
	v_add_f16_e32 v41, v41, v44
	v_fma_f16 v44, v26, 0xbbdd, -v43
	v_add_f16_e32 v33, v33, v38
	v_add_f16_e32 v38, v56, v42
	v_fmamk_f16 v42, v24, 0xbbdd, v67
	v_mul_f16_e32 v56, 0x3836, v66
	v_add_f16_e32 v44, v44, v47
	v_fmac_f16_e32 v43, 0xbbdd, v26
	v_fma_f16 v47, v24, 0xbbdd, -v67
	v_add_f16_e32 v42, v42, v49
	v_fma_f16 v49, v26, 0xbacd, -v56
	v_mul_f16_e32 v67, 0x3836, v31
	v_add_f16_e32 v43, v43, v45
	v_add_f16_e32 v45, v47, v46
	v_mul_f16_e32 v46, 0x3bb2, v66
	v_add_f16_e32 v47, v49, v50
	v_fmamk_f16 v49, v24, 0xbacd, v67
	v_fmac_f16_e32 v56, 0xbacd, v26
	v_mul_f16_e32 v68, 0x3bb2, v31
	v_fma_f16 v50, v24, 0xbacd, -v67
	v_fma_f16 v67, v26, 0xb461, -v46
	v_add_f16_e32 v49, v49, v57
	v_add_f16_e32 v48, v56, v48
	v_fmamk_f16 v56, v24, 0xb461, v68
	v_mul_f16_e32 v57, 0x3b29, v66
	v_add_f16_e32 v50, v50, v53
	v_add_f16_e32 v53, v67, v59
	v_fmac_f16_e32 v46, 0xb461, v26
	v_mul_f16_e32 v59, 0x3b29, v31
	v_add_f16_e32 v56, v56, v60
	v_fma_f16 v60, v26, 0x3722, -v57
	v_mul_f16_e32 v66, 0x35c8, v66
	v_fmac_f16_e32 v57, 0x3722, v26
	v_add_f16_e32 v46, v46, v55
	v_fmamk_f16 v55, v24, 0x3722, v59
	v_add_f16_e32 v60, v60, v63
	v_fma_f16 v59, v24, 0x3722, -v59
	v_fma_f16 v63, v26, 0x3b76, -v66
	v_add_f16_e32 v57, v57, v61
	v_sub_f16_e32 v61, v54, v23
	v_add_f16_e32 v55, v55, v64
	v_mul_f16_e32 v31, 0x35c8, v31
	v_add_f16_e32 v59, v59, v62
	v_add_f16_e32 v62, v63, v65
	;; [unrolled: 1-line block ×3, first 2 shown]
	v_mul_f16_e32 v65, 0xbb29, v61
	v_sub_f16_e32 v25, v52, v25
	v_fma_f16 v67, v24, 0xb461, -v68
	v_fmamk_f16 v63, v24, 0x3b76, v31
	v_fmac_f16_e32 v66, 0x3b76, v26
	v_fma_f16 v24, v24, 0x3b76, -v31
	v_add_f16_e32 v23, v54, v23
	v_fma_f16 v26, v64, 0x3722, -v65
	v_mul_f16_e32 v31, 0xbb29, v25
	v_mul_f16_e32 v52, 0xba62, v25
	v_add_f16_e32 v24, v24, v27
	v_mul_f16_e32 v54, 0x31e1, v61
	v_add_f16_e32 v26, v26, v34
	v_fmamk_f16 v27, v23, 0x3722, v31
	v_mul_f16_e32 v34, 0xba62, v61
	v_fma_f16 v31, v23, 0x3722, -v31
	v_add_f16_e32 v51, v63, v51
	v_mul_f16_e32 v63, 0x3bb2, v25
	v_add_f16_e32 v27, v27, v35
	v_fma_f16 v35, v64, 0xb8d2, -v34
	v_add_f16_e32 v29, v31, v29
	v_fmamk_f16 v31, v23, 0xb8d2, v52
	v_fmac_f16_e32 v34, 0xb8d2, v64
	v_add_f16_e32 v58, v67, v58
	v_add_f16_e32 v35, v35, v36
	v_fma_f16 v36, v23, 0xb8d2, -v52
	v_add_f16_e32 v31, v31, v39
	v_fma_f16 v39, v64, 0xbbdd, -v54
	v_mul_f16_e32 v52, 0x31e1, v25
	v_add_f16_e32 v21, v34, v21
	v_add_f16_e32 v34, v36, v37
	v_mul_f16_e32 v36, 0x3bb2, v61
	v_add_f16_e32 v37, v39, v40
	v_fmamk_f16 v39, v23, 0xbbdd, v52
	v_fmac_f16_e32 v54, 0xbbdd, v64
	v_fma_f16 v40, v23, 0xbbdd, -v52
	v_fma_f16 v52, v64, 0xb461, -v36
	v_fmac_f16_e32 v36, 0xb461, v64
	v_add_f16_e32 v39, v39, v41
	v_add_f16_e32 v33, v54, v33
	;; [unrolled: 1-line block ×4, first 2 shown]
	v_fmamk_f16 v41, v23, 0xb461, v63
	v_mul_f16_e32 v44, 0x3964, v61
	v_fma_f16 v52, v23, 0xb461, -v63
	v_mul_f16_e32 v54, 0x3964, v25
	v_add_f16_e32 v36, v36, v43
	v_add_f16_e32 v41, v41, v42
	v_fma_f16 v42, v64, 0x39e9, -v44
	v_add_f16_e32 v43, v52, v45
	v_fmamk_f16 v45, v23, 0x39e9, v54
	v_mul_f16_e32 v52, 0xb5c8, v61
	v_fmac_f16_e32 v44, 0x39e9, v64
	v_add_f16_e32 v42, v42, v47
	v_fma_f16 v47, v23, 0x39e9, -v54
	v_add_f16_e32 v45, v45, v49
	v_fma_f16 v49, v64, 0x3b76, -v52
	v_mul_f16_e32 v54, 0xb5c8, v25
	v_add_f16_e32 v44, v44, v48
	v_mul_f16_e32 v48, 0xbbf7, v61
	v_fmac_f16_e32 v52, 0x3b76, v64
	v_add_f16_e32 v49, v49, v53
	v_fma_f16 v53, v23, 0x3b76, -v54
	v_mul_f16_e32 v63, 0xbbf7, v25
	v_add_f16_e32 v47, v47, v50
	v_fmamk_f16 v50, v23, 0x3b76, v54
	v_fma_f16 v54, v64, 0x2de8, -v48
	v_add_f16_e32 v46, v52, v46
	v_add_f16_e32 v52, v53, v58
	v_fmac_f16_e32 v48, 0x2de8, v64
	v_fma_f16 v58, v23, 0x2de8, -v63
	v_add_f16_e32 v50, v50, v56
	v_add_f16_e32 v53, v54, v60
	v_fmamk_f16 v54, v23, 0x2de8, v63
	v_mul_f16_e32 v56, 0xb836, v61
	v_mul_f16_e32 v25, 0xb836, v25
	v_add_f16_e32 v48, v48, v57
	v_add_f16_e32 v57, v58, v59
	v_sub_f16_e32 v58, v19, v22
	v_add_f16_e32 v59, v20, v30
	v_sub_f16_e32 v20, v20, v30
	v_add_f16_e32 v28, v66, v28
	v_add_f16_e32 v54, v54, v55
	v_fma_f16 v55, v64, 0xbacd, -v56
	v_fmamk_f16 v60, v23, 0xbacd, v25
	v_mul_f16_e32 v30, 0xbbf7, v58
	v_fmac_f16_e32 v56, 0xbacd, v64
	v_fma_f16 v23, v23, 0xbacd, -v25
	v_add_f16_e32 v19, v19, v22
	v_mul_f16_e32 v22, 0xbbf7, v20
	v_fmac_f16_e32 v65, 0x3722, v64
	v_fma_f16 v25, v59, 0x2de8, -v30
	v_add_f16_e32 v28, v56, v28
	v_add_f16_e32 v23, v23, v24
	v_mul_f16_e32 v24, 0xb1e1, v58
	v_fmamk_f16 v56, v19, 0x2de8, v22
	v_fma_f16 v22, v19, 0x2de8, -v22
	v_add_f16_e32 v32, v65, v32
	v_add_f16_e32 v25, v25, v26
	v_fmac_f16_e32 v30, 0x2de8, v59
	v_fma_f16 v26, v59, 0xbbdd, -v24
	v_add_f16_e32 v27, v56, v27
	v_mul_f16_e32 v56, 0xb1e1, v20
	v_add_f16_e32 v22, v22, v29
	v_mul_f16_e32 v29, 0x3bb2, v58
	v_add_f16_e32 v51, v60, v51
	v_add_f16_e32 v30, v30, v32
	;; [unrolled: 1-line block ×3, first 2 shown]
	v_fmamk_f16 v32, v19, 0xbbdd, v56
	v_fmac_f16_e32 v24, 0xbbdd, v59
	v_fma_f16 v35, v19, 0xbbdd, -v56
	v_mul_f16_e32 v56, 0x3bb2, v20
	v_fma_f16 v60, v59, 0xb461, -v29
	v_add_f16_e32 v31, v32, v31
	v_add_f16_e32 v21, v24, v21
	;; [unrolled: 1-line block ×3, first 2 shown]
	v_fmamk_f16 v32, v19, 0xb461, v56
	v_add_f16_e32 v34, v60, v37
	v_mul_f16_e32 v35, 0x35c8, v58
	v_fmac_f16_e32 v29, 0xb461, v59
	v_fma_f16 v37, v19, 0xb461, -v56
	v_add_f16_e32 v32, v32, v39
	v_mul_f16_e32 v39, 0x35c8, v20
	v_fma_f16 v56, v59, 0x3b76, -v35
	v_add_f16_e32 v29, v29, v33
	v_add_f16_e32 v33, v37, v38
	v_mul_f16_e32 v37, 0xbb29, v58
	v_fmamk_f16 v38, v19, 0x3b76, v39
	v_add_f16_e32 v40, v56, v40
	v_fmac_f16_e32 v35, 0x3b76, v59
	v_fma_f16 v39, v19, 0x3b76, -v39
	v_fma_f16 v56, v59, 0x3722, -v37
	v_add_f16_e32 v38, v38, v41
	v_mul_f16_e32 v41, 0xbb29, v20
	v_add_f16_e32 v35, v35, v36
	v_add_f16_e32 v36, v39, v43
	;; [unrolled: 1-line block ×3, first 2 shown]
	v_mul_f16_e32 v42, 0xb836, v58
	v_fmamk_f16 v43, v19, 0x3722, v41
	v_fmac_f16_e32 v37, 0x3722, v59
	v_fma_f16 v41, v19, 0x3722, -v41
	v_mul_f16_e32 v56, 0xb836, v20
	v_fma_f16 v60, v59, 0xbacd, -v42
	v_add_f16_e32 v43, v43, v45
	v_add_f16_e32 v37, v37, v44
	;; [unrolled: 1-line block ×3, first 2 shown]
	v_fmamk_f16 v44, v19, 0xbacd, v56
	v_add_f16_e32 v45, v60, v49
	v_mul_f16_e32 v47, 0x3a62, v58
	v_fmac_f16_e32 v42, 0xbacd, v59
	v_fma_f16 v49, v19, 0xbacd, -v56
	v_add_f16_e32 v44, v44, v50
	v_mul_f16_e32 v50, 0x3a62, v20
	v_fma_f16 v56, v59, 0xb8d2, -v47
	v_add_f16_e32 v42, v42, v46
	v_add_f16_e32 v46, v49, v52
	v_mul_f16_e32 v49, 0x3964, v58
	v_add_f16_e32 v55, v55, v62
	v_fmamk_f16 v52, v19, 0xb8d2, v50
	v_add_f16_e32 v53, v56, v53
	v_fmac_f16_e32 v47, 0xb8d2, v59
	v_fma_f16 v50, v19, 0xb8d2, -v50
	v_fma_f16 v56, v59, 0x39e9, -v49
	v_add_f16_e32 v52, v52, v54
	v_mul_f16_e32 v20, 0x3964, v20
	v_add_f16_e32 v47, v47, v48
	v_add_f16_e32 v48, v50, v57
	;; [unrolled: 1-line block ×3, first 2 shown]
	v_sub_f16_e32 v54, v14, v17
	v_sub_f16_e32 v56, v16, v18
	v_fmamk_f16 v55, v19, 0x39e9, v20
	v_fmac_f16_e32 v49, 0x39e9, v59
	v_add_f16_e32 v16, v16, v18
	v_mul_f16_e32 v18, 0xbbb2, v54
	v_fma_f16 v19, v19, 0x39e9, -v20
	v_add_f16_e32 v14, v14, v17
	v_mul_f16_e32 v17, 0xbbb2, v56
	v_add_f16_e32 v20, v55, v51
	v_fma_f16 v51, v16, 0xb461, -v18
	v_add_f16_e32 v28, v49, v28
	v_add_f16_e32 v19, v19, v23
	v_fmamk_f16 v23, v14, 0xb461, v17
	v_mul_f16_e32 v49, 0x3836, v54
	v_fma_f16 v17, v14, 0xb461, -v17
	v_add_f16_e32 v25, v51, v25
	v_fmac_f16_e32 v18, 0xb461, v16
	v_add_f16_e32 v23, v23, v27
	v_fma_f16 v27, v16, 0xbacd, -v49
	v_mul_f16_e32 v51, 0x3836, v56
	v_add_f16_e32 v17, v17, v22
	v_mul_f16_e32 v22, 0x3964, v54
	v_add_f16_e32 v18, v18, v30
	v_add_f16_e32 v26, v27, v26
	v_fmamk_f16 v27, v14, 0xbacd, v51
	v_fma_f16 v30, v14, 0xbacd, -v51
	v_fma_f16 v51, v16, 0x39e9, -v22
	v_mul_f16_e32 v55, 0x3964, v56
	v_fmac_f16_e32 v49, 0xbacd, v16
	v_add_f16_e32 v27, v27, v31
	v_add_f16_e32 v24, v30, v24
	;; [unrolled: 1-line block ×3, first 2 shown]
	v_fmamk_f16 v31, v14, 0x39e9, v55
	v_mul_f16_e32 v34, 0xbb29, v54
	v_add_f16_e32 v21, v49, v21
	v_fmac_f16_e32 v22, 0x39e9, v16
	v_fma_f16 v49, v14, 0x39e9, -v55
	v_mul_f16_e32 v51, 0xbb29, v56
	v_add_f16_e32 v31, v31, v32
	v_fma_f16 v32, v16, 0x3722, -v34
	v_add_f16_e32 v22, v22, v29
	v_add_f16_e32 v29, v49, v33
	v_fmamk_f16 v33, v14, 0x3722, v51
	v_mul_f16_e32 v49, 0xb1e1, v54
	v_add_f16_e32 v32, v32, v40
	v_fmac_f16_e32 v34, 0x3722, v16
	v_fma_f16 v40, v14, 0x3722, -v51
	v_add_f16_e32 v33, v33, v38
	v_fma_f16 v38, v16, 0xbbdd, -v49
	v_mul_f16_e32 v51, 0xb1e1, v56
	v_add_f16_e32 v34, v34, v35
	v_add_f16_e32 v35, v40, v36
	v_mul_f16_e32 v36, 0x3bf7, v54
	v_add_f16_e32 v38, v38, v39
	v_fmamk_f16 v39, v14, 0xbbdd, v51
	v_fmac_f16_e32 v49, 0xbbdd, v16
	v_fma_f16 v40, v14, 0xbbdd, -v51
	v_fma_f16 v51, v16, 0x2de8, -v36
	v_mul_f16_e32 v55, 0x3bf7, v56
	v_add_f16_e32 v39, v39, v43
	v_add_f16_e32 v37, v49, v37
	v_add_f16_e32 v40, v40, v41
	v_add_f16_e32 v41, v51, v45
	v_fmamk_f16 v43, v14, 0x2de8, v55
	v_mul_f16_e32 v45, 0xb5c8, v54
	v_fmac_f16_e32 v36, 0x2de8, v16
	v_mul_f16_e32 v49, 0xb5c8, v56
	v_fma_f16 v51, v14, 0x2de8, -v55
	v_add_f16_e32 v43, v43, v44
	v_fma_f16 v44, v16, 0x3b76, -v45
	v_add_f16_e32 v36, v36, v42
	v_fmamk_f16 v42, v14, 0x3b76, v49
	v_add_f16_e32 v46, v51, v46
	v_mul_f16_e32 v51, 0xba62, v54
	v_fmac_f16_e32 v45, 0x3b76, v16
	v_fma_f16 v49, v14, 0x3b76, -v49
	v_add_f16_e32 v42, v42, v52
	v_add_f16_e32 v44, v44, v53
	v_fma_f16 v52, v16, 0xb8d2, -v51
	v_add_f16_e32 v45, v45, v47
	v_sub_f16_e32 v47, v10, v13
	v_mul_f16_e32 v53, 0xba62, v56
	v_add_f16_e32 v48, v49, v48
	v_add_f16_e32 v49, v52, v50
	;; [unrolled: 1-line block ×3, first 2 shown]
	v_mul_f16_e32 v54, 0xba62, v47
	v_sub_f16_e32 v11, v11, v12
	v_fmamk_f16 v50, v14, 0xb8d2, v53
	v_fmac_f16_e32 v51, 0xb8d2, v16
	v_fma_f16 v12, v14, 0xb8d2, -v53
	v_add_f16_e32 v10, v10, v13
	v_fma_f16 v13, v52, 0xb8d2, -v54
	v_mul_f16_e32 v14, 0xba62, v11
	v_add_f16_e32 v16, v50, v20
	v_add_f16_e32 v20, v51, v28
	;; [unrolled: 1-line block ×4, first 2 shown]
	v_fmamk_f16 v19, v10, 0xb8d2, v14
	v_mul_f16_e32 v25, 0x3bb2, v47
	v_fma_f16 v14, v10, 0xb8d2, -v14
	v_mul_f16_e32 v28, 0x3bb2, v11
	v_mul_f16_e32 v50, 0xb5c8, v47
	v_add_f16_e32 v19, v19, v23
	v_fma_f16 v23, v52, 0xb461, -v25
	v_add_f16_e32 v14, v14, v17
	v_fmamk_f16 v17, v10, 0xb461, v28
	v_fmac_f16_e32 v25, 0xb461, v52
	v_mul_f16_e32 v51, 0xb836, v11
	v_add_f16_e32 v23, v23, v26
	v_fma_f16 v26, v10, 0xb461, -v28
	v_add_f16_e32 v17, v17, v27
	v_fma_f16 v27, v52, 0x3b76, -v50
	v_mul_f16_e32 v28, 0xb5c8, v11
	v_add_f16_e32 v21, v25, v21
	v_mul_f16_e32 v25, 0xb836, v47
	v_add_f16_e32 v24, v26, v24
	v_add_f16_e32 v26, v27, v30
	v_fmamk_f16 v27, v10, 0x3b76, v28
	v_fma_f16 v28, v10, 0x3b76, -v28
	v_fma_f16 v30, v52, 0xbacd, -v25
	v_fmac_f16_e32 v50, 0x3b76, v52
	v_fmac_f16_e32 v25, 0xbacd, v52
	v_add_f16_e32 v27, v27, v31
	v_add_f16_e32 v28, v28, v29
	;; [unrolled: 1-line block ×3, first 2 shown]
	v_fmamk_f16 v30, v10, 0xbacd, v51
	v_mul_f16_e32 v31, 0x3bf7, v47
	v_add_f16_e32 v22, v50, v22
	v_fma_f16 v32, v10, 0xbacd, -v51
	v_mul_f16_e32 v50, 0x3bf7, v11
	v_add_f16_e32 v30, v30, v33
	v_fma_f16 v33, v52, 0x2de8, -v31
	v_add_f16_e32 v25, v25, v34
	v_add_f16_e32 v32, v32, v35
	v_fmamk_f16 v34, v10, 0x2de8, v50
	v_mul_f16_e32 v35, 0xb964, v47
	v_add_f16_e32 v33, v33, v38
	v_fmac_f16_e32 v31, 0x2de8, v52
	v_fma_f16 v38, v10, 0x2de8, -v50
	v_add_f16_e32 v34, v34, v39
	v_fma_f16 v39, v52, 0x39e9, -v35
	v_mul_f16_e32 v50, 0xb964, v11
	v_add_f16_e32 v31, v31, v37
	v_add_f16_e32 v37, v38, v40
	v_mul_f16_e32 v38, 0xb1e1, v47
	v_add_f16_e32 v39, v39, v41
	v_fmamk_f16 v40, v10, 0x39e9, v50
	v_fmac_f16_e32 v35, 0x39e9, v52
	v_fma_f16 v41, v10, 0x39e9, -v50
	v_fma_f16 v50, v52, 0xbbdd, -v38
	v_mul_f16_e32 v51, 0xb1e1, v11
	v_mul_f16_e32 v11, 0x3b29, v11
	v_add_f16_e32 v35, v35, v36
	v_add_f16_e32 v36, v41, v46
	;; [unrolled: 1-line block ×3, first 2 shown]
	v_mul_f16_e32 v44, 0x3b29, v47
	v_fmac_f16_e32 v38, 0xbbdd, v52
	v_fma_f16 v46, v10, 0xbbdd, -v51
	v_fmamk_f16 v47, v10, 0x3722, v11
	v_add_f16_e32 v40, v40, v43
	v_fmamk_f16 v43, v10, 0xbbdd, v51
	v_add_f16_e32 v38, v38, v45
	v_add_f16_e32 v45, v46, v48
	v_sub_f16_e32 v46, v6, v8
	v_add_f16_e32 v16, v47, v16
	v_add_f16_e32 v47, v7, v9
	v_sub_f16_e32 v7, v7, v9
	v_add_f16_e32 v42, v43, v42
	v_fma_f16 v43, v52, 0x3722, -v44
	v_mul_f16_e32 v9, 0xb836, v46
	v_fmac_f16_e32 v44, 0x3722, v52
	v_fma_f16 v10, v10, 0x3722, -v11
	v_add_f16_e32 v6, v6, v8
	v_mul_f16_e32 v8, 0xb836, v7
	v_fmac_f16_e32 v54, 0xb8d2, v52
	v_fma_f16 v11, v47, 0xbacd, -v9
	v_add_f16_e32 v20, v44, v20
	v_add_f16_e32 v10, v10, v12
	v_mul_f16_e32 v12, 0x3b29, v46
	v_fmamk_f16 v44, v6, 0xbacd, v8
	v_add_f16_e32 v18, v54, v18
	v_add_f16_e32 v11, v11, v13
	v_fmac_f16_e32 v9, 0xbacd, v47
	v_fma_f16 v8, v6, 0xbacd, -v8
	v_fma_f16 v13, v47, 0x3722, -v12
	v_add_f16_e32 v19, v44, v19
	v_mul_f16_e32 v44, 0x3b29, v7
	v_add_f16_e32 v9, v9, v18
	v_add_f16_e32 v8, v8, v14
	v_add_f16_e32 v13, v13, v23
	v_mul_f16_e32 v14, 0xbbf7, v46
	v_fmamk_f16 v18, v6, 0x3722, v44
	v_fmac_f16_e32 v12, 0x3722, v47
	v_fma_f16 v23, v6, 0x3722, -v44
	v_mul_f16_e32 v44, 0xbbf7, v7
	v_fma_f16 v48, v47, 0x2de8, -v14
	v_add_f16_e32 v17, v18, v17
	v_add_f16_e32 v12, v12, v21
	;; [unrolled: 1-line block ×3, first 2 shown]
	v_fmamk_f16 v21, v6, 0x2de8, v44
	v_add_f16_e32 v23, v48, v26
	v_mul_f16_e32 v24, 0x3a62, v46
	v_fmac_f16_e32 v14, 0x2de8, v47
	v_fma_f16 v26, v6, 0x2de8, -v44
	v_add_f16_e32 v21, v21, v27
	v_mul_f16_e32 v27, 0x3a62, v7
	v_fma_f16 v44, v47, 0xb8d2, -v24
	v_add_f16_e32 v14, v14, v22
	v_add_f16_e32 v22, v26, v28
	v_mul_f16_e32 v26, 0xb5c8, v46
	v_fmamk_f16 v28, v6, 0xb8d2, v27
	v_fmac_f16_e32 v24, 0xb8d2, v47
	v_fma_f16 v27, v6, 0xb8d2, -v27
	v_add_f16_e32 v29, v44, v29
	v_fma_f16 v44, v47, 0x3b76, -v26
	v_add_f16_e32 v28, v28, v30
	v_mul_f16_e32 v30, 0xb5c8, v7
	v_add_f16_e32 v24, v24, v25
	v_add_f16_e32 v25, v27, v32
	v_mul_f16_e32 v32, 0xb1e1, v46
	v_add_f16_e32 v27, v44, v33
	v_fmamk_f16 v33, v6, 0x3b76, v30
	v_fmac_f16_e32 v26, 0x3b76, v47
	v_fma_f16 v30, v6, 0x3b76, -v30
	v_mul_f16_e32 v44, 0xb1e1, v7
	v_fma_f16 v48, v47, 0xbbdd, -v32
	v_add_f16_e32 v33, v33, v34
	v_add_f16_e32 v26, v26, v31
	;; [unrolled: 1-line block ×3, first 2 shown]
	v_fmamk_f16 v31, v6, 0xbbdd, v44
	v_add_f16_e32 v34, v48, v39
	v_mul_f16_e32 v37, 0x3964, v46
	v_fmac_f16_e32 v32, 0xbbdd, v47
	v_fma_f16 v39, v6, 0xbbdd, -v44
	v_add_f16_e32 v31, v31, v40
	v_mul_f16_e32 v40, 0x3964, v7
	v_fma_f16 v44, v47, 0x39e9, -v37
	v_add_f16_e32 v32, v32, v35
	v_add_f16_e32 v35, v39, v36
	v_mul_f16_e32 v36, 0xbbb2, v46
	v_add_f16_e32 v43, v43, v49
	v_fmamk_f16 v39, v6, 0x39e9, v40
	v_add_f16_e32 v41, v44, v41
	v_fmac_f16_e32 v37, 0x39e9, v47
	v_fma_f16 v40, v6, 0x39e9, -v40
	v_fma_f16 v44, v47, 0xb461, -v36
	v_add_f16_e32 v39, v39, v42
	v_mul_f16_e32 v7, 0xbbb2, v7
	v_add_f16_e32 v37, v37, v38
	v_add_f16_e32 v38, v40, v45
	;; [unrolled: 1-line block ×3, first 2 shown]
	v_sub_f16_e32 v42, v2, v4
	v_sub_f16_e32 v44, v3, v5
	v_fmamk_f16 v43, v6, 0xb461, v7
	v_fmac_f16_e32 v36, 0xb461, v47
	v_add_f16_e32 v3, v3, v5
	v_mul_f16_e32 v5, 0xb1e1, v42
	v_fma_f16 v6, v6, 0xb461, -v7
	v_add_f16_e32 v2, v2, v4
	v_mul_f16_e32 v4, 0xb1e1, v44
	v_add_f16_e32 v7, v43, v16
	v_fma_f16 v16, v3, 0xbbdd, -v5
	v_add_f16_e32 v20, v36, v20
	v_add_f16_e32 v6, v6, v10
	v_fmamk_f16 v10, v2, 0xbbdd, v4
	v_mul_f16_e32 v36, 0x35c8, v42
	v_fma_f16 v4, v2, 0xbbdd, -v4
	v_add_f16_e32 v11, v16, v11
	v_fmac_f16_e32 v5, 0xbbdd, v3
	v_add_f16_e32 v10, v10, v19
	v_fma_f16 v16, v3, 0x3b76, -v36
	v_mul_f16_e32 v19, 0x35c8, v44
	v_add_f16_e32 v4, v4, v8
	v_mul_f16_e32 v8, 0xb836, v42
	v_add_f16_e32 v5, v5, v9
	v_add_f16_e32 v9, v16, v13
	v_fmamk_f16 v13, v2, 0x3b76, v19
	v_fmac_f16_e32 v36, 0x3b76, v3
	v_fma_f16 v16, v2, 0x3b76, -v19
	v_fma_f16 v19, v3, 0xbacd, -v8
	v_mul_f16_e32 v43, 0xb836, v44
	v_add_f16_e32 v13, v13, v17
	v_add_f16_e32 v12, v36, v12
	;; [unrolled: 1-line block ×4, first 2 shown]
	v_fmamk_f16 v18, v2, 0xbacd, v43
	v_mul_f16_e32 v19, 0x3964, v42
	v_fmac_f16_e32 v8, 0xbacd, v3
	v_fma_f16 v23, v2, 0xbacd, -v43
	v_mul_f16_e32 v36, 0x3964, v44
	v_add_f16_e32 v18, v18, v21
	v_fma_f16 v21, v3, 0x39e9, -v19
	v_add_f16_e32 v8, v8, v14
	v_add_f16_e32 v14, v23, v22
	v_fmamk_f16 v22, v2, 0x39e9, v36
	v_mul_f16_e32 v23, 0xba62, v42
	v_add_f16_e32 v21, v21, v29
	v_fmac_f16_e32 v19, 0x39e9, v3
	v_fma_f16 v29, v2, 0x39e9, -v36
	v_add_f16_e32 v22, v22, v28
	v_fma_f16 v28, v3, 0xb8d2, -v23
	v_mul_f16_e32 v36, 0xba62, v44
	v_add_f16_e32 v19, v19, v24
	v_add_f16_e32 v24, v29, v25
	v_mul_f16_e32 v25, 0x3b29, v42
	v_add_f16_e32 v27, v28, v27
	v_fmamk_f16 v28, v2, 0xb8d2, v36
	v_fmac_f16_e32 v23, 0xb8d2, v3
	v_fma_f16 v29, v2, 0xb8d2, -v36
	v_mul_f16_e32 v43, 0x3b29, v44
	v_fma_f16 v36, v3, 0x3722, -v25
	v_add_f16_e32 v28, v28, v33
	v_add_f16_e32 v23, v23, v26
	;; [unrolled: 1-line block ×3, first 2 shown]
	v_fmamk_f16 v30, v2, 0x3722, v43
	v_mul_f16_e32 v33, 0xbbb2, v42
	v_add_f16_e32 v29, v36, v34
	v_fmac_f16_e32 v25, 0x3722, v3
	v_fma_f16 v34, v2, 0x3722, -v43
	v_mul_f16_e32 v36, 0xbbb2, v44
	v_add_f16_e32 v30, v30, v31
	v_fma_f16 v31, v3, 0xb461, -v33
	v_add_f16_e32 v25, v25, v32
	v_add_f16_e32 v32, v34, v35
	v_fmamk_f16 v34, v2, 0xb461, v36
	v_fmac_f16_e32 v33, 0xb461, v3
	v_add_f16_e32 v31, v31, v41
	v_mul_f16_e32 v35, 0x3bf7, v42
	v_mul_f16_e32 v41, 0x3bf7, v44
	v_add_f16_e32 v34, v34, v39
	v_add_f16_e32 v33, v33, v37
	v_fma_f16 v36, v2, 0xb461, -v36
	v_fma_f16 v37, v3, 0x2de8, -v35
	v_fmamk_f16 v39, v2, 0x2de8, v41
	v_fmac_f16_e32 v35, 0x2de8, v3
	v_fma_f16 v2, v2, 0x2de8, -v41
	v_add_f16_e32 v3, v36, v38
	v_add_f16_e32 v36, v37, v40
	;; [unrolled: 1-line block ×5, first 2 shown]
	v_pack_b32_f16 v6, v11, v10
	v_pack_b32_f16 v9, v9, v13
	;; [unrolled: 1-line block ×9, first 2 shown]
	ds_store_2addr_b32 v15, v1, v6 offset1:17
	ds_store_2addr_b32 v15, v9, v10 offset0:34 offset1:51
	ds_store_2addr_b32 v15, v11, v13 offset0:68 offset1:85
	ds_store_2addr_b32 v15, v17, v18 offset0:102 offset1:119
	ds_store_2addr_b32 v15, v7, v2 offset0:136 offset1:153
	v_pack_b32_f16 v1, v33, v3
	v_mul_hi_u32 v3, 0x24924925, v0
	v_pack_b32_f16 v2, v25, v32
	v_pack_b32_f16 v6, v23, v26
	;; [unrolled: 1-line block ×5, first 2 shown]
	ds_store_2addr_b32 v15, v1, v2 offset0:170 offset1:187
	v_pack_b32_f16 v1, v5, v4
	v_mul_u32_u24_e32 v2, 7, v3
	ds_store_2addr_b32 v15, v6, v7 offset0:204 offset1:221
	ds_store_2addr_b32 v15, v8, v9 offset0:238 offset1:255
	ds_store_b32 v15, v1 offset:1088
	v_sub_nc_u32_e32 v4, v0, v2
	global_wb scope:SCOPE_SE
	s_wait_dscnt 0x0
	s_barrier_signal -1
	s_barrier_wait -1
	global_inv scope:SCOPE_SE
	s_cbranch_vccnz .LBB0_10
; %bb.7:
	v_mad_co_u64_u32 v[6:7], null, s8, v4, 0
	v_mov_b32_e32 v2, 0
	v_mul_lo_u32 v1, v3, s2
	v_lshlrev_b32_e32 v13, 2, v3
	s_mul_i32 s3, s2, 17
	s_lshl_b64 s[10:11], s[4:5], 2
	s_mov_b32 s7, exec_lo
	s_delay_alu instid0(VALU_DEP_4) | instskip(SKIP_1) | instid1(VALU_DEP_3)
	v_mov_b32_e32 v5, v7
	s_add_nc_u64 s[10:11], s[0:1], s[10:11]
	v_lshlrev_b64_e32 v[8:9], 2, v[1:2]
	s_wait_alu 0xfffe
	v_add_nc_u32_e32 v1, s3, v1
	v_mad_co_u64_u32 v[10:11], null, s9, v4, v[5:6]
	v_mul_i32_i24_e32 v5, 0x488, v4
	s_delay_alu instid0(VALU_DEP_3) | instskip(SKIP_1) | instid1(VALU_DEP_3)
	v_lshlrev_b64_e32 v[11:12], 2, v[1:2]
	v_add_nc_u32_e32 v1, s3, v1
	v_add3_u32 v5, 0, v5, v13
	v_mov_b32_e32 v7, v10
	ds_load_2addr_b32 v[15:16], v5 offset1:17
	ds_load_2addr_b32 v[17:18], v5 offset0:34 offset1:51
	v_lshlrev_b64_e32 v[6:7], 2, v[6:7]
	v_lshlrev_b64_e32 v[13:14], 2, v[1:2]
	v_add_nc_u32_e32 v1, s3, v1
	s_delay_alu instid0(VALU_DEP_3) | instskip(SKIP_1) | instid1(VALU_DEP_4)
	v_add_co_u32 v6, vcc_lo, s10, v6
	s_wait_alu 0xfffd
	v_add_co_ci_u32_e32 v7, vcc_lo, s11, v7, vcc_lo
	s_delay_alu instid0(VALU_DEP_3) | instskip(NEXT) | instid1(VALU_DEP_3)
	v_lshlrev_b64_e32 v[19:20], 2, v[1:2]
	v_add_co_u32 v8, vcc_lo, v6, v8
	s_wait_alu 0xfffd
	s_delay_alu instid0(VALU_DEP_3)
	v_add_co_ci_u32_e32 v9, vcc_lo, v7, v9, vcc_lo
	v_add_co_u32 v10, vcc_lo, v6, v11
	s_wait_alu 0xfffd
	v_add_co_ci_u32_e32 v11, vcc_lo, v7, v12, vcc_lo
	v_add_co_u32 v12, vcc_lo, v6, v13
	s_wait_alu 0xfffd
	v_add_co_ci_u32_e32 v13, vcc_lo, v7, v14, vcc_lo
	v_add_nc_u32_e32 v1, s3, v1
	s_wait_dscnt 0x1
	global_store_b32 v[8:9], v15, off
	v_add_co_u32 v8, vcc_lo, v6, v19
	s_wait_alu 0xfffd
	v_add_co_ci_u32_e32 v9, vcc_lo, v7, v20, vcc_lo
	v_lshlrev_b64_e32 v[14:15], 2, v[1:2]
	v_add_nc_u32_e32 v1, s3, v1
	global_store_b32 v[10:11], v16, off
	s_wait_dscnt 0x0
	s_clause 0x1
	global_store_b32 v[12:13], v17, off
	global_store_b32 v[8:9], v18, off
	ds_load_2addr_b32 v[8:9], v5 offset0:68 offset1:85
	ds_load_2addr_b32 v[12:13], v5 offset0:102 offset1:119
	v_lshlrev_b64_e32 v[10:11], 2, v[1:2]
	v_add_nc_u32_e32 v1, s3, v1
	v_add_co_u32 v14, vcc_lo, v6, v14
	s_wait_alu 0xfffd
	v_add_co_ci_u32_e32 v15, vcc_lo, v7, v15, vcc_lo
	s_delay_alu instid0(VALU_DEP_3) | instskip(SKIP_4) | instid1(VALU_DEP_4)
	v_lshlrev_b64_e32 v[16:17], 2, v[1:2]
	v_add_co_u32 v10, vcc_lo, v6, v10
	s_wait_alu 0xfffd
	v_add_co_ci_u32_e32 v11, vcc_lo, v7, v11, vcc_lo
	v_add_nc_u32_e32 v1, s3, v1
	v_add_co_u32 v16, vcc_lo, v6, v16
	s_wait_alu 0xfffd
	v_add_co_ci_u32_e32 v17, vcc_lo, v7, v17, vcc_lo
	s_delay_alu instid0(VALU_DEP_3)
	v_lshlrev_b64_e32 v[18:19], 2, v[1:2]
	v_add_nc_u32_e32 v1, s3, v1
	s_wait_dscnt 0x1
	s_clause 0x1
	global_store_b32 v[14:15], v8, off
	global_store_b32 v[10:11], v9, off
	s_wait_dscnt 0x0
	global_store_b32 v[16:17], v12, off
	ds_load_2addr_b32 v[8:9], v5 offset0:136 offset1:153
	v_lshlrev_b64_e32 v[10:11], 2, v[1:2]
	v_add_nc_u32_e32 v1, s3, v1
	v_add_co_u32 v14, vcc_lo, v6, v18
	s_wait_alu 0xfffd
	v_add_co_ci_u32_e32 v15, vcc_lo, v7, v19, vcc_lo
	s_delay_alu instid0(VALU_DEP_3) | instskip(SKIP_4) | instid1(VALU_DEP_4)
	v_lshlrev_b64_e32 v[16:17], 2, v[1:2]
	v_add_co_u32 v10, vcc_lo, v6, v10
	s_wait_alu 0xfffd
	v_add_co_ci_u32_e32 v11, vcc_lo, v7, v11, vcc_lo
	v_add_nc_u32_e32 v1, s3, v1
	v_add_co_u32 v16, vcc_lo, v6, v16
	s_wait_alu 0xfffd
	v_add_co_ci_u32_e32 v17, vcc_lo, v7, v17, vcc_lo
	s_delay_alu instid0(VALU_DEP_3)
	v_lshlrev_b64_e32 v[18:19], 2, v[1:2]
	v_add_nc_u32_e32 v1, s3, v1
	global_store_b32 v[14:15], v13, off
	s_wait_dscnt 0x0
	s_clause 0x1
	global_store_b32 v[10:11], v8, off
	global_store_b32 v[16:17], v9, off
	ds_load_2addr_b32 v[8:9], v5 offset0:170 offset1:187
	ds_load_2addr_b32 v[12:13], v5 offset0:204 offset1:221
	v_lshlrev_b64_e32 v[10:11], 2, v[1:2]
	v_add_nc_u32_e32 v1, s3, v1
	v_add_co_u32 v14, vcc_lo, v6, v18
	s_wait_alu 0xfffd
	v_add_co_ci_u32_e32 v15, vcc_lo, v7, v19, vcc_lo
	s_delay_alu instid0(VALU_DEP_3) | instskip(SKIP_4) | instid1(VALU_DEP_4)
	v_lshlrev_b64_e32 v[16:17], 2, v[1:2]
	v_add_nc_u32_e32 v1, s3, v1
	v_add_co_u32 v10, vcc_lo, v6, v10
	s_wait_alu 0xfffd
	v_add_co_ci_u32_e32 v11, vcc_lo, v7, v11, vcc_lo
	v_add_co_u32 v16, vcc_lo, v6, v16
	v_lshlrev_b64_e32 v[18:19], 2, v[1:2]
	v_add_nc_u32_e32 v1, s3, v1
	s_wait_alu 0xfffd
	v_add_co_ci_u32_e32 v17, vcc_lo, v7, v17, vcc_lo
	s_wait_dscnt 0x1
	s_clause 0x1
	global_store_b32 v[14:15], v8, off
	global_store_b32 v[10:11], v9, off
	s_wait_dscnt 0x0
	global_store_b32 v[16:17], v12, off
	v_lshlrev_b64_e32 v[10:11], 2, v[1:2]
	v_add_nc_u32_e32 v1, s3, v1
	ds_load_2addr_b32 v[8:9], v5 offset0:238 offset1:255
	ds_load_b32 v12, v5 offset:1088
	v_add_co_u32 v14, vcc_lo, v6, v18
	v_lshlrev_b64_e32 v[16:17], 2, v[1:2]
	v_add_nc_u32_e32 v1, s3, v1
	s_wait_alu 0xfffd
	v_add_co_ci_u32_e32 v15, vcc_lo, v7, v19, vcc_lo
	v_add_co_u32 v10, vcc_lo, v6, v10
	s_delay_alu instid0(VALU_DEP_3)
	v_lshlrev_b64_e32 v[18:19], 2, v[1:2]
	s_wait_alu 0xfffd
	v_add_co_ci_u32_e32 v11, vcc_lo, v7, v11, vcc_lo
	v_add_co_u32 v16, vcc_lo, v6, v16
	s_wait_alu 0xfffd
	v_add_co_ci_u32_e32 v17, vcc_lo, v7, v17, vcc_lo
	v_add_co_u32 v18, vcc_lo, v6, v18
	s_wait_alu 0xfffd
	v_add_co_ci_u32_e32 v19, vcc_lo, v7, v19, vcc_lo
	global_store_b32 v[14:15], v13, off
	s_wait_dscnt 0x1
	s_clause 0x1
	global_store_b32 v[10:11], v8, off
	global_store_b32 v[16:17], v9, off
	s_wait_dscnt 0x0
	global_store_b32 v[18:19], v12, off
	v_cmpx_gt_u32_e32 7, v0
	s_cbranch_execz .LBB0_9
; %bb.8:
	ds_load_b32 v5, v5 offset:1156
	v_add_nc_u32_e32 v1, s3, v1
	s_delay_alu instid0(VALU_DEP_1) | instskip(NEXT) | instid1(VALU_DEP_1)
	v_lshlrev_b64_e32 v[1:2], 2, v[1:2]
	v_add_co_u32 v1, vcc_lo, v6, v1
	s_wait_alu 0xfffd
	s_delay_alu instid0(VALU_DEP_2)
	v_add_co_ci_u32_e32 v2, vcc_lo, v7, v2, vcc_lo
	s_wait_dscnt 0x0
	global_store_b32 v[1:2], v5, off
.LBB0_9:
	s_or_b32 exec_lo, exec_lo, s7
	s_mov_b32 s3, 0
.LBB0_10:
	s_wait_alu 0xfffe
	s_and_not1_b32 vcc_lo, exec_lo, s3
	s_wait_alu 0xfffe
	s_cbranch_vccnz .LBB0_14
; %bb.11:
	v_add_nc_u32_e32 v1, s6, v4
	s_mov_b32 s3, exec_lo
	s_delay_alu instid0(VALU_DEP_1)
	v_cmpx_gt_u32_e64 s12, v1
	s_cbranch_execz .LBB0_14
; %bb.12:
	v_mul_lo_u32 v1, v3, s2
	s_mul_i32 s2, s2, 17
	v_mov_b32_e32 v2, 0
	v_mad_co_u64_u32 v[5:6], null, s8, v4, 0
	s_lshl_b64 s[4:5], s[4:5], 2
	s_delay_alu instid0(SALU_CYCLE_1) | instskip(NEXT) | instid1(VALU_DEP_2)
	s_add_nc_u64 s[0:1], s[0:1], s[4:5]
	v_lshlrev_b64_e32 v[7:8], 2, v[1:2]
	s_wait_alu 0xfffe
	v_add_nc_u32_e32 v1, s2, v1
	s_delay_alu instid0(VALU_DEP_2) | instskip(SKIP_1) | instid1(VALU_DEP_3)
	v_mad_co_u64_u32 v[9:10], null, s9, v4, v[6:7]
	v_mad_i32_i24 v4, 0x488, v4, 0
	v_lshlrev_b64_e32 v[10:11], 2, v[1:2]
	v_add_nc_u32_e32 v1, s2, v1
	s_delay_alu instid0(VALU_DEP_3) | instskip(SKIP_1) | instid1(VALU_DEP_3)
	v_lshl_add_u32 v24, v3, 2, v4
	v_mov_b32_e32 v6, v9
	v_lshlrev_b64_e32 v[12:13], 2, v[1:2]
	v_add_nc_u32_e32 v1, s2, v1
	ds_load_2addr_b32 v[14:15], v24 offset1:17
	v_lshlrev_b64_e32 v[5:6], 2, v[5:6]
	ds_load_2addr_b32 v[16:17], v24 offset0:34 offset1:51
	ds_load_2addr_b32 v[18:19], v24 offset0:68 offset1:85
	v_lshlrev_b64_e32 v[20:21], 2, v[1:2]
	v_add_nc_u32_e32 v1, s2, v1
	v_add_co_u32 v3, vcc_lo, s0, v5
	s_wait_alu 0xfffd
	v_add_co_ci_u32_e32 v5, vcc_lo, s1, v6, vcc_lo
	s_delay_alu instid0(VALU_DEP_3) | instskip(NEXT) | instid1(VALU_DEP_3)
	v_lshlrev_b64_e32 v[22:23], 2, v[1:2]
	v_add_co_u32 v6, vcc_lo, v3, v7
	s_wait_alu 0xfffd
	s_delay_alu instid0(VALU_DEP_3)
	v_add_co_ci_u32_e32 v7, vcc_lo, v5, v8, vcc_lo
	v_add_co_u32 v8, vcc_lo, v3, v10
	s_wait_alu 0xfffd
	v_add_co_ci_u32_e32 v9, vcc_lo, v5, v11, vcc_lo
	v_add_co_u32 v10, vcc_lo, v3, v12
	v_add_nc_u32_e32 v1, s2, v1
	s_wait_alu 0xfffd
	v_add_co_ci_u32_e32 v11, vcc_lo, v5, v13, vcc_lo
	s_wait_dscnt 0x2
	global_store_b32 v[6:7], v14, off
	v_add_co_u32 v6, vcc_lo, v3, v20
	s_wait_alu 0xfffd
	v_add_co_ci_u32_e32 v7, vcc_lo, v5, v21, vcc_lo
	v_lshlrev_b64_e32 v[20:21], 2, v[1:2]
	v_add_nc_u32_e32 v1, s2, v1
	v_add_co_u32 v12, vcc_lo, v3, v22
	s_wait_alu 0xfffd
	v_add_co_ci_u32_e32 v13, vcc_lo, v5, v23, vcc_lo
	global_store_b32 v[8:9], v15, off
	s_wait_dscnt 0x1
	s_clause 0x1
	global_store_b32 v[10:11], v16, off
	global_store_b32 v[6:7], v17, off
	s_wait_dscnt 0x0
	global_store_b32 v[12:13], v18, off
	v_lshlrev_b64_e32 v[6:7], 2, v[1:2]
	v_add_nc_u32_e32 v1, s2, v1
	ds_load_2addr_b32 v[10:11], v24 offset0:102 offset1:119
	ds_load_2addr_b32 v[14:15], v24 offset0:136 offset1:153
	v_add_co_u32 v8, vcc_lo, v3, v20
	v_lshlrev_b64_e32 v[12:13], 2, v[1:2]
	v_add_nc_u32_e32 v1, s2, v1
	s_wait_alu 0xfffd
	v_add_co_ci_u32_e32 v9, vcc_lo, v5, v21, vcc_lo
	v_add_co_u32 v6, vcc_lo, v3, v6
	s_delay_alu instid0(VALU_DEP_3)
	v_lshlrev_b64_e32 v[16:17], 2, v[1:2]
	v_add_nc_u32_e32 v1, s2, v1
	s_wait_alu 0xfffd
	v_add_co_ci_u32_e32 v7, vcc_lo, v5, v7, vcc_lo
	v_add_co_u32 v12, vcc_lo, v3, v12
	s_wait_alu 0xfffd
	v_add_co_ci_u32_e32 v13, vcc_lo, v5, v13, vcc_lo
	v_lshlrev_b64_e32 v[20:21], 2, v[1:2]
	v_add_nc_u32_e32 v1, s2, v1
	v_add_co_u32 v16, vcc_lo, v3, v16
	s_wait_alu 0xfffd
	v_add_co_ci_u32_e32 v17, vcc_lo, v5, v17, vcc_lo
	global_store_b32 v[8:9], v19, off
	s_wait_dscnt 0x1
	s_clause 0x1
	global_store_b32 v[6:7], v10, off
	global_store_b32 v[12:13], v11, off
	s_wait_dscnt 0x0
	global_store_b32 v[16:17], v14, off
	v_lshlrev_b64_e32 v[6:7], 2, v[1:2]
	v_add_nc_u32_e32 v1, s2, v1
	ds_load_2addr_b32 v[10:11], v24 offset0:170 offset1:187
	ds_load_2addr_b32 v[16:17], v24 offset0:204 offset1:221
	v_add_co_u32 v8, vcc_lo, v3, v20
	v_lshlrev_b64_e32 v[12:13], 2, v[1:2]
	v_add_nc_u32_e32 v1, s2, v1
	s_wait_alu 0xfffd
	v_add_co_ci_u32_e32 v9, vcc_lo, v5, v21, vcc_lo
	v_add_co_u32 v6, vcc_lo, v3, v6
	s_delay_alu instid0(VALU_DEP_3)
	v_lshlrev_b64_e32 v[18:19], 2, v[1:2]
	v_add_nc_u32_e32 v1, s2, v1
	s_wait_alu 0xfffd
	v_add_co_ci_u32_e32 v7, vcc_lo, v5, v7, vcc_lo
	v_add_co_u32 v12, vcc_lo, v3, v12
	s_wait_alu 0xfffd
	v_add_co_ci_u32_e32 v13, vcc_lo, v5, v13, vcc_lo
	v_lshlrev_b64_e32 v[20:21], 2, v[1:2]
	v_add_nc_u32_e32 v1, s2, v1
	v_add_co_u32 v18, vcc_lo, v3, v18
	s_wait_alu 0xfffd
	v_add_co_ci_u32_e32 v19, vcc_lo, v5, v19, vcc_lo
	global_store_b32 v[8:9], v15, off
	s_wait_dscnt 0x1
	s_clause 0x1
	global_store_b32 v[6:7], v10, off
	global_store_b32 v[12:13], v11, off
	s_wait_dscnt 0x0
	global_store_b32 v[18:19], v16, off
	v_lshlrev_b64_e32 v[6:7], 2, v[1:2]
	v_add_nc_u32_e32 v1, s2, v1
	ds_load_2addr_b32 v[10:11], v24 offset0:238 offset1:255
	s_mul_hi_u32 s0, s12, 0x24924925
	v_add_co_u32 v8, vcc_lo, v3, v20
	v_lshlrev_b64_e32 v[12:13], 2, v[1:2]
	v_add_nc_u32_e32 v1, s2, v1
	s_wait_alu 0xfffe
	s_sub_co_i32 s1, s12, s0
	ds_load_b32 v16, v24 offset:1088
	s_wait_alu 0xfffd
	v_add_co_ci_u32_e32 v9, vcc_lo, v5, v21, vcc_lo
	s_wait_alu 0xfffe
	s_lshr_b32 s1, s1, 1
	v_add_co_u32 v6, vcc_lo, v3, v6
	v_lshlrev_b64_e32 v[14:15], 2, v[1:2]
	s_wait_alu 0xfffe
	s_add_co_i32 s1, s1, s0
	s_wait_alu 0xfffd
	v_add_co_ci_u32_e32 v7, vcc_lo, v5, v7, vcc_lo
	s_wait_alu 0xfffe
	s_lshr_b32 s0, s1, 2
	v_add_co_u32 v12, vcc_lo, v3, v12
	s_wait_alu 0xfffe
	s_mul_i32 s0, s0, 7
	s_wait_alu 0xfffd
	v_add_co_ci_u32_e32 v13, vcc_lo, v5, v13, vcc_lo
	v_add_co_u32 v14, vcc_lo, v3, v14
	s_wait_alu 0xfffe
	s_sub_co_i32 s0, s12, s0
	s_wait_alu 0xfffd
	v_add_co_ci_u32_e32 v15, vcc_lo, v5, v15, vcc_lo
	s_wait_alu 0xfffe
	v_cmp_gt_u32_e32 vcc_lo, s0, v0
	global_store_b32 v[8:9], v17, off
	s_wait_dscnt 0x1
	s_clause 0x1
	global_store_b32 v[6:7], v10, off
	global_store_b32 v[12:13], v11, off
	s_wait_dscnt 0x0
	global_store_b32 v[14:15], v16, off
	s_and_b32 exec_lo, exec_lo, vcc_lo
	s_cbranch_execz .LBB0_14
; %bb.13:
	ds_load_b32 v4, v4 offset:1156
	v_add_nc_u32_e32 v1, s2, v1
	s_delay_alu instid0(VALU_DEP_1) | instskip(NEXT) | instid1(VALU_DEP_1)
	v_lshlrev_b64_e32 v[0:1], 2, v[1:2]
	v_add_co_u32 v0, vcc_lo, v3, v0
	s_wait_alu 0xfffd
	s_delay_alu instid0(VALU_DEP_2)
	v_add_co_ci_u32_e32 v1, vcc_lo, v5, v1, vcc_lo
	s_wait_dscnt 0x0
	global_store_b32 v[0:1], v4, off
.LBB0_14:
	s_nop 0
	s_sendmsg sendmsg(MSG_DEALLOC_VGPRS)
	s_endpgm
	.section	.rodata,"a",@progbits
	.p2align	6, 0x0
	.amdhsa_kernel fft_rtc_fwd_len289_factors_17_17_wgs_119_tpt_17_half_op_CI_CI_sbrc_erc_z_xy_unaligned_dirReg
		.amdhsa_group_segment_fixed_size 0
		.amdhsa_private_segment_fixed_size 0
		.amdhsa_kernarg_size 104
		.amdhsa_user_sgpr_count 2
		.amdhsa_user_sgpr_dispatch_ptr 0
		.amdhsa_user_sgpr_queue_ptr 0
		.amdhsa_user_sgpr_kernarg_segment_ptr 1
		.amdhsa_user_sgpr_dispatch_id 0
		.amdhsa_user_sgpr_private_segment_size 0
		.amdhsa_wavefront_size32 1
		.amdhsa_uses_dynamic_stack 0
		.amdhsa_enable_private_segment 0
		.amdhsa_system_sgpr_workgroup_id_x 1
		.amdhsa_system_sgpr_workgroup_id_y 0
		.amdhsa_system_sgpr_workgroup_id_z 0
		.amdhsa_system_sgpr_workgroup_info 0
		.amdhsa_system_vgpr_workitem_id 0
		.amdhsa_next_free_vgpr 97
		.amdhsa_next_free_sgpr 30
		.amdhsa_reserve_vcc 1
		.amdhsa_float_round_mode_32 0
		.amdhsa_float_round_mode_16_64 0
		.amdhsa_float_denorm_mode_32 3
		.amdhsa_float_denorm_mode_16_64 3
		.amdhsa_fp16_overflow 0
		.amdhsa_workgroup_processor_mode 1
		.amdhsa_memory_ordered 1
		.amdhsa_forward_progress 0
		.amdhsa_round_robin_scheduling 0
		.amdhsa_exception_fp_ieee_invalid_op 0
		.amdhsa_exception_fp_denorm_src 0
		.amdhsa_exception_fp_ieee_div_zero 0
		.amdhsa_exception_fp_ieee_overflow 0
		.amdhsa_exception_fp_ieee_underflow 0
		.amdhsa_exception_fp_ieee_inexact 0
		.amdhsa_exception_int_div_zero 0
	.end_amdhsa_kernel
	.text
.Lfunc_end0:
	.size	fft_rtc_fwd_len289_factors_17_17_wgs_119_tpt_17_half_op_CI_CI_sbrc_erc_z_xy_unaligned_dirReg, .Lfunc_end0-fft_rtc_fwd_len289_factors_17_17_wgs_119_tpt_17_half_op_CI_CI_sbrc_erc_z_xy_unaligned_dirReg
                                        ; -- End function
	.section	.AMDGPU.csdata,"",@progbits
; Kernel info:
; codeLenInByte = 17172
; NumSgprs: 32
; NumVgprs: 97
; ScratchSize: 0
; MemoryBound: 0
; FloatMode: 240
; IeeeMode: 1
; LDSByteSize: 0 bytes/workgroup (compile time only)
; SGPRBlocks: 3
; VGPRBlocks: 12
; NumSGPRsForWavesPerEU: 32
; NumVGPRsForWavesPerEU: 97
; Occupancy: 12
; WaveLimiterHint : 1
; COMPUTE_PGM_RSRC2:SCRATCH_EN: 0
; COMPUTE_PGM_RSRC2:USER_SGPR: 2
; COMPUTE_PGM_RSRC2:TRAP_HANDLER: 0
; COMPUTE_PGM_RSRC2:TGID_X_EN: 1
; COMPUTE_PGM_RSRC2:TGID_Y_EN: 0
; COMPUTE_PGM_RSRC2:TGID_Z_EN: 0
; COMPUTE_PGM_RSRC2:TIDIG_COMP_CNT: 0
	.text
	.p2alignl 7, 3214868480
	.fill 96, 4, 3214868480
	.type	__hip_cuid_84c3ad1edbd184c4,@object ; @__hip_cuid_84c3ad1edbd184c4
	.section	.bss,"aw",@nobits
	.globl	__hip_cuid_84c3ad1edbd184c4
__hip_cuid_84c3ad1edbd184c4:
	.byte	0                               ; 0x0
	.size	__hip_cuid_84c3ad1edbd184c4, 1

	.ident	"AMD clang version 19.0.0git (https://github.com/RadeonOpenCompute/llvm-project roc-6.4.0 25133 c7fe45cf4b819c5991fe208aaa96edf142730f1d)"
	.section	".note.GNU-stack","",@progbits
	.addrsig
	.addrsig_sym __hip_cuid_84c3ad1edbd184c4
	.amdgpu_metadata
---
amdhsa.kernels:
  - .args:
      - .actual_access:  read_only
        .address_space:  global
        .offset:         0
        .size:           8
        .value_kind:     global_buffer
      - .offset:         8
        .size:           8
        .value_kind:     by_value
      - .actual_access:  read_only
        .address_space:  global
        .offset:         16
        .size:           8
        .value_kind:     global_buffer
      - .actual_access:  read_only
        .address_space:  global
        .offset:         24
        .size:           8
        .value_kind:     global_buffer
      - .actual_access:  read_only
        .address_space:  global
        .offset:         32
        .size:           8
        .value_kind:     global_buffer
      - .offset:         40
        .size:           8
        .value_kind:     by_value
      - .actual_access:  read_only
        .address_space:  global
        .offset:         48
        .size:           8
        .value_kind:     global_buffer
      - .actual_access:  read_only
        .address_space:  global
        .offset:         56
        .size:           8
        .value_kind:     global_buffer
      - .offset:         64
        .size:           4
        .value_kind:     by_value
      - .actual_access:  read_only
        .address_space:  global
        .offset:         72
        .size:           8
        .value_kind:     global_buffer
      - .actual_access:  read_only
        .address_space:  global
        .offset:         80
        .size:           8
        .value_kind:     global_buffer
      - .actual_access:  read_only
        .address_space:  global
        .offset:         88
        .size:           8
        .value_kind:     global_buffer
      - .actual_access:  write_only
        .address_space:  global
        .offset:         96
        .size:           8
        .value_kind:     global_buffer
    .group_segment_fixed_size: 0
    .kernarg_segment_align: 8
    .kernarg_segment_size: 104
    .language:       OpenCL C
    .language_version:
      - 2
      - 0
    .max_flat_workgroup_size: 119
    .name:           fft_rtc_fwd_len289_factors_17_17_wgs_119_tpt_17_half_op_CI_CI_sbrc_erc_z_xy_unaligned_dirReg
    .private_segment_fixed_size: 0
    .sgpr_count:     32
    .sgpr_spill_count: 0
    .symbol:         fft_rtc_fwd_len289_factors_17_17_wgs_119_tpt_17_half_op_CI_CI_sbrc_erc_z_xy_unaligned_dirReg.kd
    .uniform_work_group_size: 1
    .uses_dynamic_stack: false
    .vgpr_count:     97
    .vgpr_spill_count: 0
    .wavefront_size: 32
    .workgroup_processor_mode: 1
amdhsa.target:   amdgcn-amd-amdhsa--gfx1201
amdhsa.version:
  - 1
  - 2
...

	.end_amdgpu_metadata
